;; amdgpu-corpus repo=ROCm/rocFFT kind=compiled arch=gfx1201 opt=O3
	.text
	.amdgcn_target "amdgcn-amd-amdhsa--gfx1201"
	.amdhsa_code_object_version 6
	.protected	bluestein_single_back_len364_dim1_dp_op_CI_CI ; -- Begin function bluestein_single_back_len364_dim1_dp_op_CI_CI
	.globl	bluestein_single_back_len364_dim1_dp_op_CI_CI
	.p2align	8
	.type	bluestein_single_back_len364_dim1_dp_op_CI_CI,@function
bluestein_single_back_len364_dim1_dp_op_CI_CI: ; @bluestein_single_back_len364_dim1_dp_op_CI_CI
; %bb.0:
	s_load_b128 s[8:11], s[0:1], 0x28
	v_mul_u32_u24_e32 v1, 0x4ed, v0
	s_mov_b32 s2, exec_lo
	v_mov_b32_e32 v105, 0
	s_delay_alu instid0(VALU_DEP_2) | instskip(NEXT) | instid1(VALU_DEP_1)
	v_lshrrev_b32_e32 v1, 16, v1
	v_add_nc_u32_e32 v104, ttmp9, v1
	s_wait_kmcnt 0x0
	s_delay_alu instid0(VALU_DEP_1)
	v_cmpx_gt_u64_e64 s[8:9], v[104:105]
	s_cbranch_execz .LBB0_23
; %bb.1:
	v_mul_lo_u16 v1, v1, 52
	s_clause 0x1
	s_load_b64 s[12:13], s[0:1], 0x0
	s_load_b64 s[8:9], s[0:1], 0x38
	s_delay_alu instid0(VALU_DEP_1) | instskip(NEXT) | instid1(VALU_DEP_1)
	v_sub_nc_u16 v0, v0, v1
	v_and_b32_e32 v247, 0xffff, v0
	v_cmp_gt_u16_e32 vcc_lo, 28, v0
	s_delay_alu instid0(VALU_DEP_2)
	v_lshlrev_b32_e32 v246, 4, v247
	v_or_b32_e32 v245, 0xe0, v247
	s_and_saveexec_b32 s3, vcc_lo
	s_cbranch_execz .LBB0_3
; %bb.2:
	s_load_b64 s[4:5], s[0:1], 0x18
	s_wait_kmcnt 0x0
	s_load_b128 s[4:7], s[4:5], 0x0
	s_wait_kmcnt 0x0
	v_mad_co_u64_u32 v[0:1], null, s6, v104, 0
	v_mad_co_u64_u32 v[2:3], null, s4, v247, 0
	;; [unrolled: 1-line block ×3, first 2 shown]
	s_delay_alu instid0(VALU_DEP_2) | instskip(SKIP_1) | instid1(VALU_DEP_1)
	v_mad_co_u64_u32 v[4:5], null, s7, v104, v[1:2]
	s_mul_u64 s[6:7], s[4:5], 0x1c0
	v_mad_co_u64_u32 v[5:6], null, s5, v247, v[3:4]
	v_mov_b32_e32 v1, v4
	s_delay_alu instid0(VALU_DEP_1) | instskip(NEXT) | instid1(VALU_DEP_3)
	v_lshlrev_b64_e32 v[0:1], 4, v[0:1]
	v_mov_b32_e32 v3, v5
	s_delay_alu instid0(VALU_DEP_2) | instskip(NEXT) | instid1(VALU_DEP_2)
	v_add_co_u32 v26, s2, s10, v0
	v_lshlrev_b64_e32 v[2:3], 4, v[2:3]
	s_delay_alu instid0(VALU_DEP_4) | instskip(SKIP_1) | instid1(VALU_DEP_3)
	v_add_co_ci_u32_e64 v27, s2, s11, v1, s2
	v_mov_b32_e32 v0, v17
	v_add_co_u32 v44, s2, v26, v2
	s_wait_alu 0xf1ff
	s_delay_alu instid0(VALU_DEP_3) | instskip(NEXT) | instid1(VALU_DEP_3)
	v_add_co_ci_u32_e64 v45, s2, v27, v3, s2
	v_mad_co_u64_u32 v[8:9], null, s5, v245, v[0:1]
	s_wait_alu 0xfffe
	v_add_co_u32 v48, s2, v44, s6
	s_wait_alu 0xf1ff
	v_add_co_ci_u32_e64 v49, s2, s7, v45, s2
	s_clause 0x1
	global_load_b128 v[0:3], v246, s[12:13]
	global_load_b128 v[4:7], v246, s[12:13] offset:448
	v_add_co_u32 v52, s2, v48, s6
	s_wait_alu 0xf1ff
	v_add_co_ci_u32_e64 v53, s2, s7, v49, s2
	v_mov_b32_e32 v17, v8
	s_delay_alu instid0(VALU_DEP_3) | instskip(SKIP_1) | instid1(VALU_DEP_3)
	v_add_co_u32 v56, s2, v52, s6
	s_wait_alu 0xf1ff
	v_add_co_ci_u32_e64 v57, s2, s7, v53, s2
	s_delay_alu instid0(VALU_DEP_3) | instskip(NEXT) | instid1(VALU_DEP_3)
	v_lshlrev_b64_e32 v[24:25], 4, v[16:17]
	v_add_co_u32 v60, s2, v56, s6
	s_wait_alu 0xf1ff
	s_delay_alu instid0(VALU_DEP_3)
	v_add_co_ci_u32_e64 v61, s2, s7, v57, s2
	s_clause 0x1
	global_load_b128 v[8:11], v246, s[12:13] offset:896
	global_load_b128 v[12:15], v246, s[12:13] offset:1344
	v_add_co_u32 v64, s2, v60, s6
	s_wait_alu 0xf1ff
	v_add_co_ci_u32_e64 v65, s2, s7, v61, s2
	s_clause 0x1
	global_load_b128 v[16:19], v246, s[12:13] offset:1792
	global_load_b128 v[20:23], v246, s[12:13] offset:2240
	v_add_co_u32 v68, s2, v64, s6
	s_wait_alu 0xf1ff
	v_add_co_ci_u32_e64 v69, s2, s7, v65, s2
	s_delay_alu instid0(VALU_DEP_2) | instskip(SKIP_1) | instid1(VALU_DEP_2)
	v_add_co_u32 v72, s2, v68, s6
	s_wait_alu 0xf1ff
	v_add_co_ci_u32_e64 v73, s2, s7, v69, s2
	v_add_co_u32 v40, s2, v26, v24
	s_wait_alu 0xf1ff
	v_add_co_ci_u32_e64 v41, s2, v27, v25, s2
	s_delay_alu instid0(VALU_DEP_3)
	v_mad_co_u64_u32 v[76:77], null, 0x380, s4, v[72:73]
	s_clause 0x3
	global_load_b128 v[24:27], v246, s[12:13] offset:2688
	global_load_b128 v[28:31], v246, s[12:13] offset:3136
	;; [unrolled: 1-line block ×4, first 2 shown]
	global_load_b128 v[40:43], v[40:41], off
	v_mov_b32_e32 v46, v77
	v_add_co_u32 v80, s2, v76, s6
	s_delay_alu instid0(VALU_DEP_2)
	v_mad_co_u64_u32 v[74:75], null, 0x380, s5, v[46:47]
	s_clause 0x4
	global_load_b128 v[44:47], v[44:45], off
	global_load_b128 v[48:51], v[48:49], off
	;; [unrolled: 1-line block ×7, first 2 shown]
	v_mov_b32_e32 v77, v74
	global_load_b128 v[72:75], v[72:73], off
	s_wait_alu 0xf1ff
	v_add_co_ci_u32_e64 v81, s2, s7, v77, s2
	v_add_co_u32 v92, s2, v80, s6
	global_load_b128 v[76:79], v[76:77], off
	s_wait_alu 0xf1ff
	v_add_co_ci_u32_e64 v93, s2, s7, v81, s2
	v_add_co_u32 v100, s2, v92, s6
	global_load_b128 v[80:83], v[80:81], off
	s_wait_alu 0xf1ff
	v_add_co_ci_u32_e64 v101, s2, s7, v93, s2
	s_clause 0x1
	global_load_b128 v[84:87], v246, s[12:13] offset:4480
	global_load_b128 v[88:91], v246, s[12:13] offset:4928
	global_load_b128 v[92:95], v[92:93], off
	global_load_b128 v[96:99], v246, s[12:13] offset:5376
	global_load_b128 v[100:103], v[100:101], off
	s_wait_loadcnt 0xf
	v_mul_f64_e32 v[107:108], v[42:43], v[34:35]
	v_mul_f64_e32 v[34:35], v[40:41], v[34:35]
	s_wait_loadcnt 0xe
	v_mul_f64_e32 v[105:106], v[46:47], v[2:3]
	v_mul_f64_e32 v[2:3], v[44:45], v[2:3]
	;; [unrolled: 3-line block ×13, first 2 shown]
	v_fma_f64 v[44:45], v[44:45], v[0:1], v[105:106]
	v_fma_f64 v[46:47], v[46:47], v[0:1], -v[2:3]
	v_fma_f64 v[0:1], v[40:41], v[32:33], v[107:108]
	v_fma_f64 v[2:3], v[42:43], v[32:33], -v[34:35]
	;; [unrolled: 2-line block ×13, first 2 shown]
	ds_store_b128 v246, v[44:47]
	ds_store_b128 v246, v[30:33] offset:448
	ds_store_b128 v246, v[4:7] offset:896
	;; [unrolled: 1-line block ×12, first 2 shown]
.LBB0_3:
	s_or_b32 exec_lo, exec_lo, s3
	s_clause 0x1
	s_load_b64 s[4:5], s[0:1], 0x20
	s_load_b64 s[2:3], s[0:1], 0x8
	global_wb scope:SCOPE_SE
	s_wait_dscnt 0x0
	s_wait_kmcnt 0x0
	s_barrier_signal -1
	s_barrier_wait -1
	global_inv scope:SCOPE_SE
                                        ; implicit-def: $vgpr20_vgpr21
                                        ; implicit-def: $vgpr48_vgpr49
                                        ; implicit-def: $vgpr64_vgpr65
                                        ; implicit-def: $vgpr44_vgpr45
                                        ; implicit-def: $vgpr40_vgpr41
                                        ; implicit-def: $vgpr36_vgpr37
                                        ; implicit-def: $vgpr32_vgpr33
                                        ; implicit-def: $vgpr28_vgpr29
                                        ; implicit-def: $vgpr24_vgpr25
                                        ; implicit-def: $vgpr56_vgpr57
                                        ; implicit-def: $vgpr72_vgpr73
                                        ; implicit-def: $vgpr60_vgpr61
                                        ; implicit-def: $vgpr52_vgpr53
	s_and_saveexec_b32 s0, vcc_lo
	s_cbranch_execz .LBB0_5
; %bb.4:
	ds_load_b128 v[20:23], v246
	ds_load_b128 v[52:55], v246 offset:448
	ds_load_b128 v[60:63], v246 offset:896
	ds_load_b128 v[48:51], v246 offset:1344
	ds_load_b128 v[64:67], v246 offset:1792
	ds_load_b128 v[72:75], v246 offset:2240
	ds_load_b128 v[56:59], v246 offset:2688
	ds_load_b128 v[44:47], v246 offset:3136
	ds_load_b128 v[40:43], v246 offset:3584
	ds_load_b128 v[36:39], v246 offset:4032
	ds_load_b128 v[32:35], v246 offset:4480
	ds_load_b128 v[28:31], v246 offset:4928
	ds_load_b128 v[24:27], v246 offset:5376
.LBB0_5:
	s_wait_alu 0xfffe
	s_or_b32 exec_lo, exec_lo, s0
	s_wait_dscnt 0x0
	v_add_f64_e64 v[14:15], v[54:55], -v[26:27]
	v_add_f64_e64 v[12:13], v[52:53], -v[24:25]
	s_mov_b32 s22, 0x42a4c3d2
	s_mov_b32 s21, 0xbfddbe06
	;; [unrolled: 1-line block ×4, first 2 shown]
	v_add_f64_e32 v[76:77], v[24:25], v[52:53]
	v_add_f64_e32 v[78:79], v[26:27], v[54:55]
	v_add_f64_e64 v[16:17], v[62:63], -v[30:31]
	v_add_f64_e64 v[18:19], v[60:61], -v[28:29]
	s_mov_b32 s6, 0xe00740e9
	s_mov_b32 s0, 0x1ea71119
	s_mov_b32 s30, 0x66966769
	s_mov_b32 s24, 0x2ef20147
	s_mov_b32 s7, 0x3fec55a7
	s_mov_b32 s1, 0x3fe22d96
	s_mov_b32 s31, 0xbfefc445
	s_mov_b32 s25, 0xbfedeba7
	v_add_f64_e32 v[84:85], v[28:29], v[60:61]
	v_add_f64_e32 v[86:87], v[30:31], v[62:63]
	v_add_f64_e64 v[68:69], v[50:51], -v[34:35]
	v_add_f64_e64 v[70:71], v[48:49], -v[32:33]
	s_mov_b32 s14, 0xebaa3ed8
	s_mov_b32 s10, 0xb2365da1
	;; [unrolled: 1-line block ×6, first 2 shown]
	v_add_f64_e32 v[92:93], v[48:49], v[32:33]
	v_add_f64_e32 v[94:95], v[50:51], v[34:35]
	v_add_f64_e64 v[229:230], v[66:67], -v[38:39]
	v_add_f64_e64 v[233:234], v[64:65], -v[36:37]
	s_mov_b32 s28, 0x24c2f84
	s_mov_b32 s16, 0x93053d00
	;; [unrolled: 1-line block ×6, first 2 shown]
	v_mul_f64_e32 v[0:1], s[20:21], v[14:15]
	v_mul_f64_e32 v[2:3], s[20:21], v[12:13]
	;; [unrolled: 1-line block ×14, first 2 shown]
	s_mov_b32 s18, s28
	s_mov_b32 s34, s24
	v_add_f64_e32 v[100:101], v[64:65], v[36:37]
	v_add_f64_e32 v[102:103], v[66:67], v[38:39]
	v_add_f64_e64 v[237:238], v[74:75], -v[42:43]
	v_add_f64_e64 v[239:240], v[72:73], -v[40:41]
	v_mul_f64_e32 v[96:97], s[30:31], v[68:69]
	v_mul_f64_e32 v[98:99], s[30:31], v[70:71]
	;; [unrolled: 1-line block ×14, first 2 shown]
	s_mov_b32 s18, 0xd0032e0c
	s_mov_b32 s19, 0xbfe7f3cc
	;; [unrolled: 1-line block ×4, first 2 shown]
	s_clause 0x1
	scratch_store_b64 off, v[0:1], off
	scratch_store_b64 off, v[2:3], off offset:8
	s_wait_alu 0xfffe
	v_fma_f64 v[0:1], v[76:77], s[6:7], v[0:1]
	v_fma_f64 v[2:3], v[78:79], s[6:7], -v[2:3]
	v_fma_f64 v[4:5], v[76:77], s[0:1], v[111:112]
	v_fma_f64 v[6:7], v[78:79], s[0:1], -v[117:118]
	v_fma_f64 v[121:122], v[76:77], s[14:15], v[145:146]
	v_fma_f64 v[127:128], v[78:79], s[14:15], -v[147:148]
	v_fma_f64 v[8:9], v[84:85], s[0:1], v[88:89]
	v_fma_f64 v[10:11], v[86:87], s[0:1], -v[90:91]
	v_fma_f64 v[125:126], v[84:85], s[10:11], v[113:114]
	v_fma_f64 v[131:132], v[86:87], s[10:11], -v[119:120]
	v_fma_f64 v[167:168], v[76:77], s[10:11], v[177:178]
	v_fma_f64 v[139:140], v[86:87], s[16:17], -v[115:116]
	v_fma_f64 v[171:172], v[78:79], s[10:11], -v[181:182]
	s_mov_b32 s21, 0x3fddbe06
	v_add_f64_e64 v[241:242], v[58:59], -v[46:47]
	v_add_f64_e64 v[248:249], v[56:57], -v[44:45]
	v_mul_f64_e32 v[183:184], s[34:35], v[237:238]
	v_mul_f64_e32 v[187:188], s[34:35], v[239:240]
	v_fma_f64 v[133:134], v[92:93], s[14:15], v[96:97]
	v_fma_f64 v[135:136], v[94:95], s[14:15], -v[98:99]
	v_mul_f64_e32 v[149:150], s[34:35], v[16:17]
	v_fma_f64 v[161:162], v[94:95], s[16:17], -v[129:130]
	s_wait_alu 0xfffe
	v_mul_f64_e32 v[169:170], s[20:21], v[229:230]
	v_mul_f64_e32 v[173:174], s[20:21], v[233:234]
	v_fma_f64 v[195:196], v[92:93], s[10:11], v[141:142]
	v_fma_f64 v[197:198], v[94:95], s[10:11], -v[143:144]
	v_mul_f64_e32 v[163:164], s[20:21], v[68:69]
	v_mul_f64_e32 v[165:166], s[20:21], v[70:71]
	v_fma_f64 v[179:180], v[100:101], s[10:11], v[105:106]
	v_fma_f64 v[189:190], v[102:103], s[10:11], -v[107:108]
	v_fma_f64 v[193:194], v[100:101], s[18:19], v[151:152]
	v_fma_f64 v[201:202], v[102:103], s[18:19], -v[153:154]
	v_fma_f64 v[203:204], v[78:79], s[18:19], -v[219:220]
	v_fma_f64 v[205:206], v[84:85], s[18:19], v[155:156]
	v_fma_f64 v[213:214], v[86:87], s[18:19], -v[157:158]
	v_mul_f64_e32 v[185:186], s[22:23], v[237:238]
	v_mul_f64_e32 v[191:192], s[22:23], v[239:240]
	;; [unrolled: 1-line block ×3, first 2 shown]
	v_add_f64_e32 v[0:1], v[20:21], v[0:1]
	v_add_f64_e32 v[2:3], v[22:23], v[2:3]
	;; [unrolled: 1-line block ×8, first 2 shown]
	global_wb scope:SCOPE_SE
	s_wait_storecnt 0x0
	s_barrier_signal -1
	v_add_f64_e32 v[209:210], v[20:21], v[167:168]
	v_mul_f64_e32 v[167:168], s[22:23], v[70:71]
	v_add_f64_e32 v[215:216], v[22:23], v[171:172]
	v_mul_f64_e32 v[171:172], s[30:31], v[229:230]
	v_mul_f64_e32 v[207:208], s[20:21], v[241:242]
	;; [unrolled: 1-line block ×3, first 2 shown]
	s_mov_b32 s31, 0x3fcea1e5
	s_mov_b32 s30, s26
	s_barrier_wait -1
	global_inv scope:SCOPE_SE
	v_fma_f64 v[225:226], v[100:101], s[6:7], v[169:170]
	v_fma_f64 v[227:228], v[102:103], s[6:7], -v[173:174]
	v_fma_f64 v[243:244], v[92:93], s[6:7], v[163:164]
	v_fma_f64 v[250:251], v[94:95], s[6:7], -v[165:166]
	v_add_f64_e32 v[235:236], v[22:23], v[203:204]
	v_mul_f64_e32 v[203:204], s[28:29], v[241:242]
	v_fma_f64 v[82:83], v[102:103], s[14:15], -v[175:176]
	v_add_f64_e32 v[0:1], v[8:9], v[0:1]
	v_add_f64_e32 v[2:3], v[10:11], v[2:3]
	v_fma_f64 v[8:9], v[92:93], s[16:17], v[123:124]
	v_fma_f64 v[10:11], v[84:85], s[16:17], v[109:110]
	v_add_f64_e32 v[4:5], v[125:126], v[4:5]
	v_add_f64_e32 v[6:7], v[131:132], v[6:7]
	v_mul_f64_e32 v[125:126], s[28:29], v[237:238]
	v_mul_f64_e32 v[131:132], s[28:29], v[239:240]
	v_add_f64_e32 v[199:200], v[139:140], v[159:160]
	v_mul_f64_e32 v[159:160], s[34:35], v[18:19]
	v_mul_f64_e32 v[139:140], s[26:27], v[248:249]
	v_add_f64_e32 v[205:206], v[205:206], v[209:210]
	v_add_f64_e32 v[213:214], v[213:214], v[215:216]
	v_mul_f64_e32 v[209:210], s[28:29], v[248:249]
	v_fma_f64 v[80:81], v[94:95], s[0:1], -v[167:168]
	v_add_f64_e32 v[0:1], v[133:134], v[0:1]
	v_add_f64_e32 v[2:3], v[135:136], v[2:3]
	;; [unrolled: 1-line block ×6, first 2 shown]
	v_fma_f64 v[8:9], v[76:77], s[18:19], v[217:218]
	v_add_f64_e32 v[137:138], v[46:47], v[58:59]
	v_mul_f64_e32 v[135:136], s[26:27], v[241:242]
	v_mul_f64_e32 v[161:162], s[22:23], v[68:69]
	v_fma_f64 v[221:222], v[121:122], s[18:19], v[125:126]
	v_fma_f64 v[223:224], v[127:128], s[18:19], -v[131:132]
	v_add_f64_e32 v[197:198], v[197:198], v[199:200]
	v_fma_f64 v[199:200], v[127:128], s[14:15], -v[187:188]
	v_fma_f64 v[231:232], v[86:87], s[14:15], -v[159:160]
	v_add_f64_e32 v[243:244], v[243:244], v[205:206]
	v_add_f64_e32 v[213:214], v[250:251], v[213:214]
	s_mov_b32 s23, 0x3fea55e2
	s_wait_alu 0xfffe
	v_mul_f64_e32 v[205:206], s[22:23], v[241:242]
	v_add_f64_e32 v[0:1], v[179:180], v[0:1]
	v_add_f64_e32 v[2:3], v[189:190], v[2:3]
	v_fma_f64 v[189:190], v[121:122], s[14:15], v[183:184]
	v_add_f64_e32 v[10:11], v[195:196], v[10:11]
	v_add_f64_e32 v[4:5], v[193:194], v[4:5]
	;; [unrolled: 1-line block ×3, first 2 shown]
	v_fma_f64 v[201:202], v[84:85], s[14:15], v[149:150]
	v_add_f64_e32 v[8:9], v[20:21], v[8:9]
	v_mul_f64_e32 v[193:194], s[30:31], v[237:238]
	v_mul_f64_e32 v[195:196], s[30:31], v[239:240]
	;; [unrolled: 1-line block ×3, first 2 shown]
	v_fma_f64 v[215:216], v[133:134], s[16:17], v[135:136]
	v_fma_f64 v[252:253], v[137:138], s[16:17], -v[139:140]
	v_add_f64_e32 v[227:228], v[227:228], v[197:198]
	v_fma_f64 v[254:255], v[137:138], s[6:7], -v[211:212]
	v_add_f64_e32 v[231:232], v[231:232], v[235:236]
	v_fma_f64 v[235:236], v[100:101], s[14:15], v[171:172]
	v_mul_f64_e32 v[197:198], s[20:21], v[237:238]
	v_add_f64_e32 v[82:83], v[82:83], v[213:214]
	v_mul_f64_e32 v[213:214], s[24:25], v[248:249]
	v_mul_f64_e32 v[229:230], s[22:23], v[229:230]
	v_add_f64_e32 v[0:1], v[221:222], v[0:1]
	v_add_f64_e32 v[2:3], v[223:224], v[2:3]
	v_fma_f64 v[221:222], v[121:122], s[0:1], v[185:186]
	v_fma_f64 v[223:224], v[127:128], s[0:1], -v[191:192]
	v_add_f64_e32 v[10:11], v[225:226], v[10:11]
	v_fma_f64 v[225:226], v[133:134], s[6:7], v[207:208]
	v_add_f64_e32 v[4:5], v[189:190], v[4:5]
	v_add_f64_e32 v[6:7], v[199:200], v[6:7]
	v_mul_f64_e32 v[189:190], s[30:31], v[233:234]
	v_fma_f64 v[199:200], v[92:93], s[0:1], v[161:162]
	v_add_f64_e32 v[8:9], v[201:202], v[8:9]
	v_mul_f64_e32 v[201:202], s[20:21], v[239:240]
	v_mul_f64_e32 v[239:240], s[24:25], v[239:240]
	v_add_f64_e32 v[80:81], v[80:81], v[231:232]
	v_add_f64_e32 v[235:236], v[235:236], v[243:244]
	v_fma_f64 v[243:244], v[127:128], s[16:17], -v[195:196]
	v_mul_f64_e32 v[231:232], s[26:27], v[14:15]
	v_fma_f64 v[14:15], v[133:134], s[0:1], v[205:206]
	v_add_f64_e32 v[0:1], v[215:216], v[0:1]
	v_add_f64_e32 v[2:3], v[252:253], v[2:3]
	v_mul_f64_e32 v[215:216], s[22:23], v[248:249]
	v_add_f64_e32 v[223:224], v[223:224], v[227:228]
	v_add_f64_e32 v[10:11], v[221:222], v[10:11]
	v_fma_f64 v[221:222], v[133:134], s[18:19], v[203:204]
	v_fma_f64 v[227:228], v[137:138], s[18:19], -v[209:210]
	v_add_f64_e32 v[4:5], v[225:226], v[4:5]
	v_add_f64_e32 v[6:7], v[254:255], v[6:7]
	v_fma_f64 v[225:226], v[100:101], s[16:17], v[179:180]
	v_add_f64_e32 v[250:251], v[199:200], v[8:9]
	v_fma_f64 v[252:253], v[102:103], s[16:17], -v[189:190]
	v_fma_f64 v[254:255], v[121:122], s[16:17], v[193:194]
	v_mul_f64_e32 v[199:200], s[24:25], v[241:242]
	v_add_f64_e32 v[82:83], v[243:244], v[82:83]
	v_mul_f64_e32 v[243:244], s[26:27], v[12:13]
	v_add_f64_e32 v[8:9], v[221:222], v[10:11]
	v_add_f64_e32 v[10:11], v[227:228], v[223:224]
	v_fma_f64 v[227:228], v[121:122], s[6:7], v[197:198]
	v_mul_f64_e32 v[221:222], s[20:21], v[16:17]
	v_mul_f64_e32 v[223:224], s[20:21], v[18:19]
	v_add_f64_e32 v[225:226], v[225:226], v[250:251]
	v_add_f64_e32 v[80:81], v[252:253], v[80:81]
	v_fma_f64 v[250:251], v[127:128], s[6:7], -v[201:202]
	v_add_f64_e32 v[235:236], v[254:255], v[235:236]
	v_fma_f64 v[252:253], v[137:138], s[0:1], -v[215:216]
	v_fma_f64 v[16:17], v[133:134], s[10:11], v[199:200]
	v_fma_f64 v[254:255], v[76:77], s[16:17], v[231:232]
	v_add_f64_e32 v[18:19], v[227:228], v[225:226]
	v_mul_f64_e32 v[225:226], s[28:29], v[68:69]
	v_add_f64_e32 v[80:81], v[250:251], v[80:81]
	v_fma_f64 v[250:251], v[137:138], s[10:11], -v[213:214]
	v_add_f64_e32 v[12:13], v[14:15], v[235:236]
	v_add_f64_e32 v[14:15], v[252:253], v[82:83]
	v_fma_f64 v[82:83], v[78:79], s[16:17], -v[243:244]
	v_mul_f64_e32 v[227:228], s[28:29], v[70:71]
	v_fma_f64 v[68:69], v[84:85], s[6:7], v[221:222]
	v_add_f64_e32 v[70:71], v[20:21], v[254:255]
	v_mul_f64_e32 v[235:236], s[22:23], v[233:234]
	v_mul_f64_e32 v[233:234], s[24:25], v[237:238]
	;; [unrolled: 1-line block ×4, first 2 shown]
	v_add_f64_e32 v[16:17], v[16:17], v[18:19]
	v_add_f64_e32 v[18:19], v[250:251], v[80:81]
	v_fma_f64 v[80:81], v[86:87], s[6:7], -v[223:224]
	v_fma_f64 v[250:251], v[92:93], s[18:19], v[225:226]
	v_add_f64_e32 v[82:83], v[22:23], v[82:83]
	v_add_f64_e32 v[68:69], v[68:69], v[70:71]
	v_fma_f64 v[70:71], v[94:95], s[18:19], -v[227:228]
	v_fma_f64 v[248:249], v[133:134], s[14:15], v[237:238]
	s_delay_alu instid0(VALU_DEP_4) | instskip(SKIP_3) | instid1(VALU_DEP_4)
	v_add_f64_e32 v[80:81], v[80:81], v[82:83]
	v_fma_f64 v[82:83], v[100:101], s[0:1], v[229:230]
	v_add_f64_e32 v[68:69], v[250:251], v[68:69]
	v_fma_f64 v[250:251], v[102:103], s[0:1], -v[235:236]
	v_add_f64_e32 v[70:71], v[70:71], v[80:81]
	v_fma_f64 v[80:81], v[121:122], s[10:11], v[233:234]
	s_delay_alu instid0(VALU_DEP_4) | instskip(SKIP_1) | instid1(VALU_DEP_4)
	v_add_f64_e32 v[68:69], v[82:83], v[68:69]
	v_fma_f64 v[82:83], v[127:128], s[10:11], -v[239:240]
	v_add_f64_e32 v[70:71], v[250:251], v[70:71]
	s_delay_alu instid0(VALU_DEP_3) | instskip(SKIP_1) | instid1(VALU_DEP_3)
	v_add_f64_e32 v[68:69], v[80:81], v[68:69]
	v_fma_f64 v[80:81], v[137:138], s[14:15], -v[241:242]
	v_add_f64_e32 v[70:71], v[82:83], v[70:71]
	s_delay_alu instid0(VALU_DEP_3) | instskip(SKIP_1) | instid1(VALU_DEP_3)
	v_add_f64_e32 v[68:69], v[248:249], v[68:69]
	v_mul_lo_u16 v248, v247, 13
	v_add_f64_e32 v[70:71], v[80:81], v[70:71]
	s_and_saveexec_b32 s20, vcc_lo
	s_cbranch_execz .LBB0_7
; %bb.6:
	v_add_f64_e32 v[54:55], v[22:23], v[54:55]
	v_add_f64_e32 v[52:53], v[20:21], v[52:53]
	s_delay_alu instid0(VALU_DEP_2) | instskip(NEXT) | instid1(VALU_DEP_2)
	v_add_f64_e32 v[54:55], v[62:63], v[54:55]
	v_add_f64_e32 v[52:53], v[60:61], v[52:53]
	v_mul_f64_e32 v[60:61], s[10:11], v[127:128]
	s_delay_alu instid0(VALU_DEP_3) | instskip(NEXT) | instid1(VALU_DEP_3)
	v_add_f64_e32 v[50:51], v[50:51], v[54:55]
	v_add_f64_e32 v[48:49], v[48:49], v[52:53]
	s_delay_alu instid0(VALU_DEP_3) | instskip(SKIP_3) | instid1(VALU_DEP_2)
	v_add_f64_e32 v[60:61], v[239:240], v[60:61]
	scratch_load_b64 v[52:53], off, off th:TH_LOAD_LU ; 8-byte Folded Reload
	v_add_f64_e32 v[50:51], v[66:67], v[50:51]
	v_add_f64_e32 v[48:49], v[64:65], v[48:49]
	;; [unrolled: 1-line block ×3, first 2 shown]
	s_delay_alu instid0(VALU_DEP_2) | instskip(NEXT) | instid1(VALU_DEP_2)
	v_add_f64_e32 v[48:49], v[72:73], v[48:49]
	v_add_f64_e32 v[50:51], v[58:59], v[50:51]
	s_delay_alu instid0(VALU_DEP_2) | instskip(SKIP_2) | instid1(VALU_DEP_4)
	v_add_f64_e32 v[48:49], v[56:57], v[48:49]
	v_mul_f64_e32 v[56:57], s[0:1], v[102:103]
	v_mul_f64_e32 v[58:59], s[0:1], v[100:101]
	v_add_f64_e32 v[46:47], v[46:47], v[50:51]
	scratch_load_b64 v[50:51], off, off offset:8 th:TH_LOAD_LU ; 8-byte Folded Reload
	v_add_f64_e32 v[44:45], v[44:45], v[48:49]
	v_mul_f64_e32 v[48:49], s[6:7], v[78:79]
	v_add_f64_e32 v[56:57], v[235:236], v[56:57]
	v_add_f64_e64 v[58:59], v[58:59], -v[229:230]
	v_add_f64_e32 v[42:43], v[42:43], v[46:47]
	v_mul_f64_e32 v[46:47], s[18:19], v[76:77]
	v_add_f64_e32 v[40:41], v[40:41], v[44:45]
	v_mul_f64_e32 v[44:45], s[0:1], v[76:77]
	s_delay_alu instid0(VALU_DEP_4) | instskip(SKIP_1) | instid1(VALU_DEP_4)
	v_add_f64_e32 v[38:39], v[38:39], v[42:43]
	v_mul_f64_e32 v[42:43], s[0:1], v[78:79]
	v_add_f64_e32 v[36:37], v[36:37], v[40:41]
	v_mul_f64_e32 v[40:41], s[14:15], v[76:77]
	v_add_f64_e64 v[44:45], v[44:45], -v[111:112]
	v_add_f64_e64 v[46:47], v[46:47], -v[217:218]
	v_add_f64_e32 v[34:35], v[34:35], v[38:39]
	v_mul_f64_e32 v[38:39], s[14:15], v[78:79]
	v_add_f64_e32 v[32:33], v[32:33], v[36:37]
	v_mul_f64_e32 v[36:37], s[10:11], v[76:77]
	v_add_f64_e64 v[40:41], v[40:41], -v[145:146]
	v_add_f64_e32 v[42:43], v[117:118], v[42:43]
	v_add_f64_e32 v[30:31], v[30:31], v[34:35]
	v_mul_f64_e32 v[34:35], s[10:11], v[78:79]
	v_add_f64_e32 v[28:29], v[28:29], v[32:33]
	v_mul_f64_e32 v[32:33], s[18:19], v[78:79]
	v_add_f64_e64 v[36:37], v[36:37], -v[177:178]
	v_add_f64_e32 v[38:39], v[147:148], v[38:39]
	v_add_f64_e32 v[40:41], v[20:21], v[40:41]
	v_add_f64_e32 v[26:27], v[26:27], v[30:31]
	v_mul_f64_e32 v[30:31], s[16:17], v[76:77]
	v_add_f64_e32 v[24:25], v[24:25], v[28:29]
	v_mul_f64_e32 v[28:29], s[16:17], v[78:79]
	v_add_f64_e32 v[32:33], v[219:220], v[32:33]
	v_add_f64_e32 v[34:35], v[181:182], v[34:35]
	;; [unrolled: 1-line block ×3, first 2 shown]
	v_add_f64_e64 v[30:31], v[30:31], -v[231:232]
	v_add_f64_e32 v[28:29], v[243:244], v[28:29]
	s_delay_alu instid0(VALU_DEP_4)
	v_add_f64_e32 v[54:55], v[22:23], v[34:35]
	v_add_f64_e32 v[34:35], v[22:23], v[42:43]
	;; [unrolled: 1-line block ×5, first 2 shown]
	s_wait_loadcnt 0x0
	v_add_f64_e32 v[48:49], v[50:51], v[48:49]
	v_mul_f64_e32 v[50:51], s[6:7], v[76:77]
	s_delay_alu instid0(VALU_DEP_1)
	v_add_f64_e64 v[50:51], v[50:51], -v[52:53]
	v_add_f64_e32 v[52:53], v[22:23], v[32:33]
	v_add_f64_e32 v[32:33], v[22:23], v[38:39]
	;; [unrolled: 1-line block ×4, first 2 shown]
	v_mul_f64_e32 v[22:23], s[6:7], v[84:85]
	v_mul_f64_e32 v[48:49], s[18:19], v[94:95]
	v_add_f64_e32 v[46:47], v[20:21], v[50:51]
	v_mul_f64_e32 v[20:21], s[6:7], v[86:87]
	v_mul_f64_e32 v[50:51], s[18:19], v[92:93]
	v_add_f64_e64 v[22:23], v[22:23], -v[221:222]
	v_add_f64_e32 v[48:49], v[227:228], v[48:49]
	s_delay_alu instid0(VALU_DEP_4) | instskip(NEXT) | instid1(VALU_DEP_4)
	v_add_f64_e32 v[20:21], v[223:224], v[20:21]
	v_add_f64_e64 v[50:51], v[50:51], -v[225:226]
	s_delay_alu instid0(VALU_DEP_4) | instskip(SKIP_1) | instid1(VALU_DEP_4)
	v_add_f64_e32 v[22:23], v[22:23], v[30:31]
	v_mul_f64_e32 v[30:31], s[14:15], v[137:138]
	v_add_f64_e32 v[20:21], v[20:21], v[28:29]
	v_mul_f64_e32 v[28:29], s[10:11], v[121:122]
	s_delay_alu instid0(VALU_DEP_4) | instskip(NEXT) | instid1(VALU_DEP_4)
	v_add_f64_e32 v[22:23], v[50:51], v[22:23]
	v_add_f64_e32 v[30:31], v[241:242], v[30:31]
	v_mul_f64_e32 v[50:51], s[16:17], v[92:93]
	v_add_f64_e32 v[20:21], v[48:49], v[20:21]
	v_add_f64_e64 v[28:29], v[28:29], -v[233:234]
	v_mul_f64_e32 v[48:49], s[14:15], v[133:134]
	v_add_f64_e32 v[22:23], v[58:59], v[22:23]
	v_mul_f64_e32 v[58:59], s[18:19], v[100:101]
	v_add_f64_e64 v[50:51], v[50:51], -v[123:124]
	v_add_f64_e32 v[20:21], v[56:57], v[20:21]
	v_mul_f64_e32 v[56:57], s[18:19], v[102:103]
	v_add_f64_e64 v[48:49], v[48:49], -v[237:238]
	v_add_f64_e32 v[28:29], v[28:29], v[22:23]
	v_add_f64_e64 v[58:59], v[58:59], -v[151:152]
	v_add_f64_e32 v[20:21], v[60:61], v[20:21]
	v_add_f64_e32 v[56:57], v[153:154], v[56:57]
	v_mul_f64_e32 v[60:61], s[14:15], v[127:128]
	s_delay_alu instid0(VALU_DEP_3)
	v_add_f64_e32 v[22:23], v[30:31], v[20:21]
	v_add_f64_e32 v[20:21], v[48:49], v[28:29]
	v_mul_f64_e32 v[28:29], s[10:11], v[86:87]
	v_mul_f64_e32 v[30:31], s[10:11], v[84:85]
	;; [unrolled: 1-line block ×3, first 2 shown]
	v_add_f64_e32 v[60:61], v[187:188], v[60:61]
	s_delay_alu instid0(VALU_DEP_4) | instskip(NEXT) | instid1(VALU_DEP_4)
	v_add_f64_e32 v[28:29], v[119:120], v[28:29]
	v_add_f64_e64 v[30:31], v[30:31], -v[113:114]
	s_delay_alu instid0(VALU_DEP_4) | instskip(NEXT) | instid1(VALU_DEP_3)
	v_add_f64_e32 v[48:49], v[129:130], v[48:49]
	v_add_f64_e32 v[28:29], v[28:29], v[34:35]
	s_delay_alu instid0(VALU_DEP_3) | instskip(SKIP_2) | instid1(VALU_DEP_4)
	v_add_f64_e32 v[30:31], v[30:31], v[38:39]
	v_mul_f64_e32 v[34:35], s[14:15], v[121:122]
	v_mul_f64_e32 v[38:39], s[6:7], v[137:138]
	v_add_f64_e32 v[28:29], v[48:49], v[28:29]
	s_delay_alu instid0(VALU_DEP_4) | instskip(NEXT) | instid1(VALU_DEP_4)
	v_add_f64_e32 v[30:31], v[50:51], v[30:31]
	v_add_f64_e64 v[34:35], v[34:35], -v[183:184]
	v_mul_f64_e32 v[48:49], s[6:7], v[133:134]
	v_add_f64_e32 v[38:39], v[211:212], v[38:39]
	v_mul_f64_e32 v[50:51], s[10:11], v[92:93]
	v_add_f64_e32 v[28:29], v[56:57], v[28:29]
	v_add_f64_e32 v[30:31], v[58:59], v[30:31]
	v_mul_f64_e32 v[56:57], s[6:7], v[102:103]
	v_add_f64_e64 v[48:49], v[48:49], -v[207:208]
	v_mul_f64_e32 v[58:59], s[6:7], v[100:101]
	v_add_f64_e64 v[50:51], v[50:51], -v[141:142]
	v_add_f64_e32 v[28:29], v[60:61], v[28:29]
	v_add_f64_e32 v[34:35], v[34:35], v[30:31]
	;; [unrolled: 1-line block ×3, first 2 shown]
	v_mul_f64_e32 v[60:61], s[0:1], v[127:128]
	v_add_f64_e64 v[58:59], v[58:59], -v[169:170]
	v_add_f64_e32 v[30:31], v[38:39], v[28:29]
	v_add_f64_e32 v[28:29], v[48:49], v[34:35]
	v_mul_f64_e32 v[34:35], s[16:17], v[86:87]
	v_mul_f64_e32 v[38:39], s[16:17], v[84:85]
	;; [unrolled: 1-line block ×3, first 2 shown]
	v_add_f64_e32 v[60:61], v[191:192], v[60:61]
	s_delay_alu instid0(VALU_DEP_4) | instskip(NEXT) | instid1(VALU_DEP_4)
	v_add_f64_e32 v[34:35], v[115:116], v[34:35]
	v_add_f64_e64 v[38:39], v[38:39], -v[109:110]
	s_delay_alu instid0(VALU_DEP_4) | instskip(NEXT) | instid1(VALU_DEP_3)
	v_add_f64_e32 v[48:49], v[143:144], v[48:49]
	v_add_f64_e32 v[32:33], v[34:35], v[32:33]
	s_delay_alu instid0(VALU_DEP_3) | instskip(SKIP_2) | instid1(VALU_DEP_4)
	v_add_f64_e32 v[34:35], v[38:39], v[40:41]
	v_mul_f64_e32 v[38:39], s[0:1], v[121:122]
	v_mul_f64_e32 v[40:41], s[18:19], v[137:138]
	v_add_f64_e32 v[32:33], v[48:49], v[32:33]
	s_delay_alu instid0(VALU_DEP_4) | instskip(NEXT) | instid1(VALU_DEP_4)
	v_add_f64_e32 v[34:35], v[50:51], v[34:35]
	v_add_f64_e64 v[38:39], v[38:39], -v[185:186]
	v_mul_f64_e32 v[48:49], s[18:19], v[133:134]
	v_add_f64_e32 v[40:41], v[209:210], v[40:41]
	v_mul_f64_e32 v[50:51], s[6:7], v[92:93]
	v_add_f64_e32 v[32:33], v[56:57], v[32:33]
	v_add_f64_e32 v[34:35], v[58:59], v[34:35]
	v_mul_f64_e32 v[56:57], s[14:15], v[102:103]
	v_add_f64_e64 v[48:49], v[48:49], -v[203:204]
	v_mul_f64_e32 v[58:59], s[14:15], v[100:101]
	v_add_f64_e64 v[50:51], v[50:51], -v[163:164]
	v_add_f64_e32 v[32:33], v[60:61], v[32:33]
	v_add_f64_e32 v[38:39], v[38:39], v[34:35]
	v_add_f64_e32 v[56:57], v[175:176], v[56:57]
	v_mul_f64_e32 v[60:61], s[16:17], v[127:128]
	v_add_f64_e64 v[58:59], v[58:59], -v[171:172]
	v_add_f64_e32 v[34:35], v[40:41], v[32:33]
	v_add_f64_e32 v[32:33], v[48:49], v[38:39]
	v_mul_f64_e32 v[38:39], s[18:19], v[86:87]
	v_mul_f64_e32 v[40:41], s[18:19], v[84:85]
	;; [unrolled: 1-line block ×3, first 2 shown]
	v_add_f64_e32 v[60:61], v[195:196], v[60:61]
	s_delay_alu instid0(VALU_DEP_4) | instskip(NEXT) | instid1(VALU_DEP_4)
	v_add_f64_e32 v[38:39], v[157:158], v[38:39]
	v_add_f64_e64 v[40:41], v[40:41], -v[155:156]
	s_delay_alu instid0(VALU_DEP_4) | instskip(NEXT) | instid1(VALU_DEP_3)
	v_add_f64_e32 v[48:49], v[165:166], v[48:49]
	v_add_f64_e32 v[38:39], v[38:39], v[54:55]
	s_delay_alu instid0(VALU_DEP_3) | instskip(SKIP_2) | instid1(VALU_DEP_4)
	v_add_f64_e32 v[36:37], v[40:41], v[36:37]
	v_mul_f64_e32 v[40:41], s[16:17], v[121:122]
	v_mul_f64_e32 v[54:55], s[0:1], v[92:93]
	v_add_f64_e32 v[38:39], v[48:49], v[38:39]
	s_delay_alu instid0(VALU_DEP_4)
	v_add_f64_e32 v[36:37], v[50:51], v[36:37]
	v_mul_f64_e32 v[48:49], s[0:1], v[137:138]
	v_add_f64_e64 v[40:41], v[40:41], -v[193:194]
	v_mul_f64_e32 v[50:51], s[0:1], v[133:134]
	v_add_f64_e64 v[54:55], v[54:55], -v[161:162]
	v_add_f64_e32 v[38:39], v[56:57], v[38:39]
	v_add_f64_e32 v[36:37], v[58:59], v[36:37]
	;; [unrolled: 1-line block ×3, first 2 shown]
	v_mul_f64_e32 v[56:57], s[16:17], v[102:103]
	v_add_f64_e64 v[50:51], v[50:51], -v[205:206]
	v_mul_f64_e32 v[58:59], s[16:17], v[100:101]
	v_add_f64_e32 v[38:39], v[60:61], v[38:39]
	v_add_f64_e32 v[36:37], v[40:41], v[36:37]
	v_mul_f64_e32 v[40:41], s[14:15], v[86:87]
	v_add_f64_e32 v[56:57], v[189:190], v[56:57]
	v_mul_f64_e32 v[60:61], s[6:7], v[127:128]
	v_add_f64_e64 v[58:59], v[58:59], -v[179:180]
	v_add_f64_e32 v[38:39], v[48:49], v[38:39]
	v_mul_f64_e32 v[48:49], s[14:15], v[84:85]
	v_add_f64_e32 v[36:37], v[50:51], v[36:37]
	v_add_f64_e32 v[40:41], v[159:160], v[40:41]
	v_mul_f64_e32 v[50:51], s[0:1], v[94:95]
	v_add_f64_e32 v[60:61], v[201:202], v[60:61]
	v_add_f64_e64 v[48:49], v[48:49], -v[149:150]
	s_delay_alu instid0(VALU_DEP_4) | instskip(NEXT) | instid1(VALU_DEP_4)
	v_add_f64_e32 v[40:41], v[40:41], v[52:53]
	v_add_f64_e32 v[50:51], v[167:168], v[50:51]
	v_mul_f64_e32 v[52:53], s[10:11], v[133:134]
	s_delay_alu instid0(VALU_DEP_4) | instskip(SKIP_1) | instid1(VALU_DEP_4)
	v_add_f64_e32 v[42:43], v[48:49], v[42:43]
	v_mul_f64_e32 v[48:49], s[6:7], v[121:122]
	v_add_f64_e32 v[40:41], v[50:51], v[40:41]
	v_mul_f64_e32 v[50:51], s[10:11], v[137:138]
	v_add_f64_e64 v[52:53], v[52:53], -v[199:200]
	v_add_f64_e32 v[42:43], v[54:55], v[42:43]
	v_add_f64_e64 v[48:49], v[48:49], -v[197:198]
	v_mul_f64_e32 v[54:55], s[14:15], v[92:93]
	v_add_f64_e32 v[40:41], v[56:57], v[40:41]
	v_add_f64_e32 v[50:51], v[213:214], v[50:51]
	v_mul_f64_e32 v[56:57], s[10:11], v[102:103]
	v_add_f64_e32 v[42:43], v[58:59], v[42:43]
	v_mul_f64_e32 v[58:59], s[10:11], v[100:101]
	v_add_f64_e64 v[54:55], v[54:55], -v[96:97]
	v_add_f64_e32 v[40:41], v[60:61], v[40:41]
	v_mul_f64_e32 v[60:61], s[18:19], v[127:128]
	v_add_f64_e32 v[56:57], v[107:108], v[56:57]
	v_add_f64_e32 v[48:49], v[48:49], v[42:43]
	v_add_f64_e64 v[58:59], v[58:59], -v[105:106]
	v_add_f64_e32 v[42:43], v[50:51], v[40:41]
	v_mul_f64_e32 v[50:51], s[0:1], v[84:85]
	v_add_f64_e32 v[60:61], v[131:132], v[60:61]
	v_add_f64_e32 v[40:41], v[52:53], v[48:49]
	v_mul_f64_e32 v[48:49], s[0:1], v[86:87]
	v_mul_f64_e32 v[52:53], s[14:15], v[94:95]
	v_add_f64_e64 v[50:51], v[50:51], -v[88:89]
	s_delay_alu instid0(VALU_DEP_3) | instskip(NEXT) | instid1(VALU_DEP_3)
	v_add_f64_e32 v[48:49], v[90:91], v[48:49]
	v_add_f64_e32 v[52:53], v[98:99], v[52:53]
	s_delay_alu instid0(VALU_DEP_3) | instskip(SKIP_1) | instid1(VALU_DEP_4)
	v_add_f64_e32 v[46:47], v[50:51], v[46:47]
	v_mul_f64_e32 v[50:51], s[16:17], v[137:138]
	v_add_f64_e32 v[44:45], v[48:49], v[44:45]
	v_mul_f64_e32 v[48:49], s[18:19], v[121:122]
	s_delay_alu instid0(VALU_DEP_4) | instskip(NEXT) | instid1(VALU_DEP_4)
	v_add_f64_e32 v[46:47], v[54:55], v[46:47]
	v_add_f64_e32 v[50:51], v[139:140], v[50:51]
	s_delay_alu instid0(VALU_DEP_4) | instskip(NEXT) | instid1(VALU_DEP_4)
	v_add_f64_e32 v[44:45], v[52:53], v[44:45]
	v_add_f64_e64 v[48:49], v[48:49], -v[125:126]
	v_mul_f64_e32 v[52:53], s[16:17], v[133:134]
	v_add_f64_e32 v[46:47], v[58:59], v[46:47]
	s_delay_alu instid0(VALU_DEP_4) | instskip(NEXT) | instid1(VALU_DEP_3)
	v_add_f64_e32 v[44:45], v[56:57], v[44:45]
	v_add_f64_e64 v[52:53], v[52:53], -v[135:136]
	s_delay_alu instid0(VALU_DEP_3) | instskip(NEXT) | instid1(VALU_DEP_3)
	v_add_f64_e32 v[48:49], v[48:49], v[46:47]
	v_add_f64_e32 v[44:45], v[60:61], v[44:45]
	s_delay_alu instid0(VALU_DEP_1) | instskip(NEXT) | instid1(VALU_DEP_3)
	v_add_f64_e32 v[46:47], v[50:51], v[44:45]
	v_add_f64_e32 v[44:45], v[52:53], v[48:49]
	v_and_b32_e32 v48, 0xffff, v248
	s_delay_alu instid0(VALU_DEP_1)
	v_lshlrev_b32_e32 v48, 4, v48
	ds_store_b128 v48, v[28:31] offset:32
	ds_store_b128 v48, v[32:35] offset:48
	;; [unrolled: 1-line block ×11, first 2 shown]
	ds_store_b128 v48, v[24:27]
	ds_store_b128 v48, v[0:3] offset:192
.LBB0_7:
	s_wait_alu 0xfffe
	s_or_b32 exec_lo, exec_lo, s20
	v_and_b32_e32 v20, 0xff, v247
	s_load_b128 s[4:7], s[4:5], 0x0
	global_wb scope:SCOPE_SE
	s_wait_dscnt 0x0
	s_wait_kmcnt 0x0
	s_barrier_signal -1
	s_barrier_wait -1
	v_mul_lo_u16 v20, 0x4f, v20
	global_inv scope:SCOPE_SE
	s_mov_b32 s0, 0x37e14327
	s_mov_b32 s1, 0x3fe948f6
	;; [unrolled: 1-line block ×3, first 2 shown]
	v_lshrrev_b16 v96, 10, v20
	s_mov_b32 s14, 0xe976ee23
	s_mov_b32 s11, 0x3fac98ee
	;; [unrolled: 1-line block ×4, first 2 shown]
	v_mul_lo_u16 v20, v96, 13
	s_mov_b32 s16, 0x5476071b
	s_mov_b32 s19, 0x3fd5d0dc
	;; [unrolled: 1-line block ×3, first 2 shown]
	s_delay_alu instid0(VALU_DEP_1) | instskip(NEXT) | instid1(VALU_DEP_1)
	v_sub_nc_u16 v20, v247, v20
	v_and_b32_e32 v97, 0xff, v20
	s_delay_alu instid0(VALU_DEP_1) | instskip(NEXT) | instid1(VALU_DEP_1)
	v_mul_u32_u24_e32 v20, 6, v97
	v_lshlrev_b32_e32 v32, 4, v20
	s_clause 0x5
	global_load_b128 v[24:27], v32, s[2:3]
	global_load_b128 v[20:23], v32, s[2:3] offset:16
	global_load_b128 v[28:31], v32, s[2:3] offset:80
	;; [unrolled: 1-line block ×5, first 2 shown]
	ds_load_b128 v[44:47], v246 offset:832
	ds_load_b128 v[48:51], v246 offset:1664
	;; [unrolled: 1-line block ×6, first 2 shown]
	s_wait_loadcnt_dscnt 0x505
	v_mul_f64_e32 v[72:73], v[46:47], v[26:27]
	v_mul_f64_e32 v[74:75], v[44:45], v[26:27]
	s_wait_loadcnt_dscnt 0x404
	v_mul_f64_e32 v[76:77], v[50:51], v[22:23]
	v_mul_f64_e32 v[78:79], v[48:49], v[22:23]
	;; [unrolled: 3-line block ×6, first 2 shown]
	v_fma_f64 v[44:45], v[44:45], v[24:25], -v[72:73]
	v_fma_f64 v[46:47], v[46:47], v[24:25], v[74:75]
	v_fma_f64 v[48:49], v[48:49], v[20:21], -v[76:77]
	v_fma_f64 v[50:51], v[50:51], v[20:21], v[78:79]
	v_fma_f64 v[52:53], v[52:53], v[28:29], -v[80:81]
	v_fma_f64 v[54:55], v[54:55], v[28:29], v[82:83]
	v_fma_f64 v[56:57], v[56:57], v[40:41], -v[84:85]
	v_fma_f64 v[58:59], v[58:59], v[40:41], v[86:87]
	v_fma_f64 v[60:61], v[60:61], v[36:37], -v[88:89]
	v_fma_f64 v[62:63], v[62:63], v[36:37], v[90:91]
	v_fma_f64 v[64:65], v[64:65], v[32:33], -v[92:93]
	v_fma_f64 v[66:67], v[66:67], v[32:33], v[94:95]
	v_add_f64_e32 v[72:73], v[44:45], v[52:53]
	v_add_f64_e32 v[74:75], v[46:47], v[54:55]
	;; [unrolled: 1-line block ×4, first 2 shown]
	v_add_f64_e64 v[48:49], v[48:49], -v[56:57]
	v_add_f64_e64 v[50:51], v[50:51], -v[58:59]
	v_add_f64_e32 v[80:81], v[60:61], v[64:65]
	v_add_f64_e32 v[82:83], v[62:63], v[66:67]
	v_add_f64_e64 v[56:57], v[64:65], -v[60:61]
	v_add_f64_e64 v[58:59], v[66:67], -v[62:63]
	;; [unrolled: 1-line block ×4, first 2 shown]
	v_add_f64_e32 v[44:45], v[76:77], v[72:73]
	v_add_f64_e32 v[46:47], v[78:79], v[74:75]
	v_add_f64_e64 v[60:61], v[72:73], -v[80:81]
	v_add_f64_e64 v[62:63], v[74:75], -v[82:83]
	;; [unrolled: 1-line block ×10, first 2 shown]
	v_add_f64_e32 v[48:49], v[56:57], v[48:49]
	v_add_f64_e32 v[50:51], v[58:59], v[50:51]
	v_add_f64_e64 v[56:57], v[52:53], -v[56:57]
	v_add_f64_e64 v[58:59], v[54:55], -v[58:59]
	v_add_f64_e32 v[80:81], v[80:81], v[44:45]
	v_add_f64_e32 v[82:83], v[82:83], v[46:47]
	ds_load_b128 v[44:47], v246
	global_wb scope:SCOPE_SE
	s_wait_dscnt 0x0
	s_wait_alu 0xfffe
	v_mul_f64_e32 v[60:61], s[0:1], v[60:61]
	v_mul_f64_e32 v[62:63], s[0:1], v[62:63]
	s_mov_b32 s0, 0x429ad128
	v_mul_f64_e32 v[76:77], s[10:11], v[64:65]
	v_mul_f64_e32 v[78:79], s[10:11], v[66:67]
	;; [unrolled: 1-line block ×4, first 2 shown]
	s_mov_b32 s1, 0x3febfeb5
	s_mov_b32 s14, 0xaaaaaaaa
	s_wait_alu 0xfffe
	v_mul_f64_e32 v[92:93], s[0:1], v[88:89]
	v_mul_f64_e32 v[94:95], s[0:1], v[90:91]
	s_mov_b32 s15, 0xbff2aaaa
	v_add_f64_e32 v[48:49], v[48:49], v[52:53]
	v_add_f64_e32 v[50:51], v[50:51], v[54:55]
	s_barrier_signal -1
	s_barrier_wait -1
	global_inv scope:SCOPE_SE
	v_add_f64_e32 v[44:45], v[44:45], v[80:81]
	v_add_f64_e32 v[46:47], v[46:47], v[82:83]
	v_fma_f64 v[52:53], v[64:65], s[10:11], v[60:61]
	v_fma_f64 v[54:55], v[66:67], s[10:11], v[62:63]
	v_fma_f64 v[64:65], v[72:73], s[16:17], -v[76:77]
	v_fma_f64 v[66:67], v[74:75], s[16:17], -v[78:79]
	s_mov_b32 s17, 0xbfe77f67
	v_fma_f64 v[76:77], v[56:57], s[18:19], v[84:85]
	v_fma_f64 v[78:79], v[58:59], s[18:19], v[86:87]
	s_mov_b32 s19, 0xbfd5d0dc
	v_fma_f64 v[84:85], v[88:89], s[0:1], -v[84:85]
	v_fma_f64 v[86:87], v[90:91], s[0:1], -v[86:87]
	s_wait_alu 0xfffe
	v_fma_f64 v[56:57], v[56:57], s[18:19], -v[92:93]
	v_fma_f64 v[58:59], v[58:59], s[18:19], -v[94:95]
	;; [unrolled: 1-line block ×4, first 2 shown]
	s_mov_b32 s0, 0x37c3f68c
	s_mov_b32 s1, 0x3fdc38aa
	v_fma_f64 v[80:81], v[80:81], s[14:15], v[44:45]
	v_fma_f64 v[82:83], v[82:83], s[14:15], v[46:47]
	s_wait_alu 0xfffe
	v_fma_f64 v[88:89], v[48:49], s[0:1], v[76:77]
	v_fma_f64 v[90:91], v[50:51], s[0:1], v[78:79]
	;; [unrolled: 1-line block ×6, first 2 shown]
	v_cmp_gt_u16_e64 s0, 39, v247
	v_add_f64_e32 v[84:85], v[52:53], v[80:81]
	v_add_f64_e32 v[86:87], v[54:55], v[82:83]
	;; [unrolled: 1-line block ×7, first 2 shown]
	v_add_f64_e64 v[50:51], v[86:87], -v[88:89]
	v_add_f64_e32 v[52:53], v[76:77], v[60:61]
	v_add_f64_e64 v[54:55], v[62:63], -v[78:79]
	v_add_f64_e64 v[56:57], v[64:65], -v[72:73]
	v_add_f64_e32 v[58:59], v[74:75], v[66:67]
	v_add_f64_e32 v[72:73], v[72:73], v[64:65]
	v_add_f64_e64 v[74:75], v[66:67], -v[74:75]
	v_add_f64_e64 v[76:77], v[60:61], -v[76:77]
	v_add_f64_e32 v[78:79], v[78:79], v[62:63]
	v_add_f64_e64 v[84:85], v[84:85], -v[90:91]
	v_add_f64_e32 v[86:87], v[88:89], v[86:87]
	v_and_b32_e32 v60, 0xffff, v96
	s_delay_alu instid0(VALU_DEP_1) | instskip(NEXT) | instid1(VALU_DEP_1)
	v_mul_u32_u24_e32 v60, 0x5b, v60
	v_add_lshl_u32 v177, v60, v97, 4
	ds_store_b128 v177, v[44:47]
	ds_store_b128 v177, v[48:51] offset:208
	ds_store_b128 v177, v[52:55] offset:416
	ds_store_b128 v177, v[56:59] offset:624
	ds_store_b128 v177, v[72:75] offset:832
	ds_store_b128 v177, v[76:79] offset:1040
	ds_store_b128 v177, v[84:87] offset:1248
	global_wb scope:SCOPE_SE
	s_wait_dscnt 0x0
	s_barrier_signal -1
	s_barrier_wait -1
	global_inv scope:SCOPE_SE
	ds_load_b128 v[80:83], v246
	ds_load_b128 v[96:99], v246 offset:1456
	ds_load_b128 v[92:95], v246 offset:2912
	;; [unrolled: 1-line block ×3, first 2 shown]
	s_and_saveexec_b32 s1, s0
	s_cbranch_execz .LBB0_9
; %bb.8:
	ds_load_b128 v[72:75], v246 offset:832
	ds_load_b128 v[76:79], v246 offset:2288
	;; [unrolled: 1-line block ×4, first 2 shown]
.LBB0_9:
	s_wait_alu 0xfffe
	s_or_b32 exec_lo, exec_lo, s1
	v_add_nc_u32_e32 v46, 52, v247
	v_subrev_nc_u32_e32 v47, 39, v247
	v_mad_co_u64_u32 v[44:45], null, v247, 48, s[2:3]
	s_delay_alu instid0(VALU_DEP_2) | instskip(SKIP_3) | instid1(VALU_DEP_2)
	v_cndmask_b32_e64 v46, v47, v46, s0
	global_load_b128 v[60:63], v[44:45], off offset:1248
	v_mul_i32_i24_e32 v47, 48, v46
	v_mul_hi_i32_i24_e32 v48, 48, v46
	v_add_co_u32 v46, s1, s2, v47
	s_wait_alu 0xf1ff
	s_delay_alu instid0(VALU_DEP_2)
	v_add_co_ci_u32_e64 v47, s1, s3, v48, s1
	s_clause 0x4
	global_load_b128 v[64:67], v[44:45], off offset:1264
	global_load_b128 v[56:59], v[44:45], off offset:1280
	global_load_b128 v[52:55], v[46:47], off offset:1248
	global_load_b128 v[48:51], v[46:47], off offset:1264
	global_load_b128 v[44:47], v[46:47], off offset:1280
	s_wait_loadcnt_dscnt 0x502
	v_mul_f64_e32 v[100:101], v[98:99], v[62:63]
	v_mul_f64_e32 v[102:103], v[96:97], v[62:63]
	s_wait_loadcnt_dscnt 0x401
	v_mul_f64_e32 v[105:106], v[94:95], v[66:67]
	v_mul_f64_e32 v[107:108], v[92:93], v[66:67]
	;; [unrolled: 3-line block ×3, first 2 shown]
	s_wait_loadcnt 0x2
	v_mul_f64_e32 v[113:114], v[78:79], v[54:55]
	v_mul_f64_e32 v[115:116], v[76:77], v[54:55]
	s_wait_loadcnt 0x1
	v_mul_f64_e32 v[117:118], v[86:87], v[50:51]
	v_mul_f64_e32 v[119:120], v[84:85], v[50:51]
	;; [unrolled: 3-line block ×3, first 2 shown]
	v_fma_f64 v[96:97], v[96:97], v[60:61], -v[100:101]
	v_fma_f64 v[98:99], v[98:99], v[60:61], v[102:103]
	v_fma_f64 v[92:93], v[92:93], v[64:65], -v[105:106]
	v_fma_f64 v[94:95], v[94:95], v[64:65], v[107:108]
	;; [unrolled: 2-line block ×6, first 2 shown]
	v_add_f64_e64 v[100:101], v[80:81], -v[92:93]
	v_add_f64_e64 v[102:103], v[82:83], -v[94:95]
	;; [unrolled: 1-line block ×8, first 2 shown]
	v_fma_f64 v[105:106], v[80:81], 2.0, -v[100:101]
	v_fma_f64 v[107:108], v[82:83], 2.0, -v[102:103]
	;; [unrolled: 1-line block ×4, first 2 shown]
	v_add_f64_e64 v[92:93], v[100:101], -v[90:91]
	v_add_f64_e32 v[94:95], v[102:103], v[88:89]
	v_fma_f64 v[72:73], v[72:73], 2.0, -v[84:85]
	v_fma_f64 v[74:75], v[74:75], 2.0, -v[86:87]
	;; [unrolled: 1-line block ×4, first 2 shown]
	v_add_f64_e64 v[76:77], v[84:85], -v[70:71]
	v_add_f64_e64 v[96:97], v[105:106], -v[80:81]
	;; [unrolled: 1-line block ×3, first 2 shown]
	v_fma_f64 v[100:101], v[100:101], 2.0, -v[92:93]
	v_fma_f64 v[102:103], v[102:103], 2.0, -v[94:95]
	v_add_f64_e64 v[80:81], v[72:73], -v[109:110]
	v_add_f64_e64 v[82:83], v[74:75], -v[78:79]
	v_add_f64_e32 v[78:79], v[86:87], v[68:69]
	v_fma_f64 v[84:85], v[84:85], 2.0, -v[76:77]
	v_fma_f64 v[68:69], v[105:106], 2.0, -v[96:97]
	;; [unrolled: 1-line block ×3, first 2 shown]
	ds_store_b128 v246, v[68:71]
	ds_store_b128 v246, v[100:103] offset:1456
	ds_store_b128 v246, v[96:99] offset:2912
	;; [unrolled: 1-line block ×3, first 2 shown]
	v_fma_f64 v[88:89], v[72:73], 2.0, -v[80:81]
	v_fma_f64 v[90:91], v[74:75], 2.0, -v[82:83]
	v_fma_f64 v[86:87], v[86:87], 2.0, -v[78:79]
	s_and_saveexec_b32 s1, s0
	s_cbranch_execz .LBB0_11
; %bb.10:
	ds_store_b128 v246, v[88:91] offset:832
	ds_store_b128 v246, v[84:87] offset:2288
	;; [unrolled: 1-line block ×4, first 2 shown]
.LBB0_11:
	s_wait_alu 0xfffe
	s_or_b32 exec_lo, exec_lo, s1
	global_wb scope:SCOPE_SE
	s_wait_dscnt 0x0
	s_barrier_signal -1
	s_barrier_wait -1
	global_inv scope:SCOPE_SE
	s_and_saveexec_b32 s1, vcc_lo
	s_cbranch_execz .LBB0_13
; %bb.12:
	s_add_nc_u64 s[2:3], s[12:13], 0x16c0
	s_clause 0xc
	global_load_b128 v[72:75], v246, s[12:13] offset:5824
	global_load_b128 v[105:108], v246, s[2:3] offset:448
	;; [unrolled: 1-line block ×13, first 2 shown]
	ds_load_b128 v[153:156], v246
	ds_load_b128 v[157:160], v246 offset:448
	ds_load_b128 v[161:164], v246 offset:896
	;; [unrolled: 1-line block ×12, first 2 shown]
	s_wait_loadcnt_dscnt 0xc0c
	v_mul_f64_e32 v[206:207], v[155:156], v[74:75]
	v_mul_f64_e32 v[74:75], v[153:154], v[74:75]
	s_wait_loadcnt_dscnt 0xb0b
	v_mul_f64_e32 v[208:209], v[159:160], v[107:108]
	v_mul_f64_e32 v[107:108], v[157:158], v[107:108]
	;; [unrolled: 3-line block ×13, first 2 shown]
	v_fma_f64 v[151:152], v[153:154], v[72:73], -v[206:207]
	v_fma_f64 v[153:154], v[155:156], v[72:73], v[74:75]
	v_fma_f64 v[72:73], v[157:158], v[105:106], -v[208:209]
	v_fma_f64 v[74:75], v[159:160], v[105:106], v[107:108]
	v_fma_f64 v[105:106], v[161:162], v[109:110], -v[210:211]
	v_fma_f64 v[107:108], v[163:164], v[109:110], v[111:112]
	v_fma_f64 v[109:110], v[165:166], v[113:114], -v[212:213]
	v_fma_f64 v[111:112], v[167:168], v[113:114], v[115:116]
	v_fma_f64 v[113:114], v[169:170], v[117:118], -v[214:215]
	v_fma_f64 v[115:116], v[171:172], v[117:118], v[119:120]
	v_fma_f64 v[117:118], v[173:174], v[121:122], -v[216:217]
	v_fma_f64 v[119:120], v[175:176], v[121:122], v[123:124]
	v_fma_f64 v[121:122], v[178:179], v[125:126], -v[218:219]
	v_fma_f64 v[123:124], v[180:181], v[125:126], v[127:128]
	v_fma_f64 v[125:126], v[182:183], v[129:130], -v[220:221]
	v_fma_f64 v[127:128], v[184:185], v[129:130], v[131:132]
	v_fma_f64 v[129:130], v[186:187], v[133:134], -v[222:223]
	v_fma_f64 v[131:132], v[188:189], v[133:134], v[135:136]
	v_fma_f64 v[133:134], v[190:191], v[137:138], -v[224:225]
	v_fma_f64 v[135:136], v[192:193], v[137:138], v[139:140]
	v_fma_f64 v[137:138], v[194:195], v[141:142], -v[226:227]
	v_fma_f64 v[139:140], v[196:197], v[141:142], v[143:144]
	v_fma_f64 v[141:142], v[198:199], v[145:146], -v[228:229]
	v_fma_f64 v[143:144], v[200:201], v[145:146], v[147:148]
	v_fma_f64 v[145:146], v[202:203], v[149:150], -v[230:231]
	v_fma_f64 v[147:148], v[204:205], v[149:150], v[232:233]
	ds_store_b128 v246, v[151:154]
	ds_store_b128 v246, v[72:75] offset:448
	ds_store_b128 v246, v[105:108] offset:896
	;; [unrolled: 1-line block ×12, first 2 shown]
.LBB0_13:
	s_wait_alu 0xfffe
	s_or_b32 exec_lo, exec_lo, s1
	global_wb scope:SCOPE_SE
	s_wait_dscnt 0x0
	s_barrier_signal -1
	s_barrier_wait -1
	global_inv scope:SCOPE_SE
	s_and_saveexec_b32 s1, vcc_lo
	s_cbranch_execz .LBB0_15
; %bb.14:
	ds_load_b128 v[68:71], v246
	ds_load_b128 v[100:103], v246 offset:448
	ds_load_b128 v[96:99], v246 offset:896
	;; [unrolled: 1-line block ×12, first 2 shown]
.LBB0_15:
	s_wait_alu 0xfffe
	s_or_b32 exec_lo, exec_lo, s1
	s_wait_dscnt 0x0
	v_add_f64_e64 v[147:148], v[102:103], -v[2:3]
	v_add_f64_e32 v[149:150], v[2:3], v[102:103]
	s_mov_b32 s2, 0x93053d00
	s_mov_b32 s10, 0x4bc48dbf
	s_mov_b32 s3, 0xbfef11f4
	s_mov_b32 s11, 0xbfcea1e5
	v_add_f64_e32 v[145:146], v[0:1], v[100:101]
	v_add_f64_e64 v[155:156], v[100:101], -v[0:1]
	v_add_f64_e64 v[111:112], v[98:99], -v[6:7]
	v_add_f64_e32 v[105:106], v[6:7], v[98:99]
	s_mov_b32 s16, 0xe00740e9
	s_mov_b32 s17, 0x3fec55a7
	s_mov_b32 s35, 0x3fddbe06
	s_mov_b32 s34, 0x4267c47c
	v_add_f64_e32 v[107:108], v[4:5], v[96:97]
	v_add_f64_e64 v[115:116], v[96:97], -v[4:5]
	v_add_f64_e64 v[119:120], v[94:95], -v[10:11]
	v_add_f64_e32 v[109:110], v[94:95], v[10:11]
	s_mov_b32 s14, 0xd0032e0c
	s_mov_b32 s18, 0x24c2f84
	s_mov_b32 s15, 0xbfe7f3cc
	s_mov_b32 s19, 0xbfe5384d
	v_add_f64_e32 v[113:114], v[92:93], v[8:9]
	v_add_f64_e64 v[123:124], v[92:93], -v[8:9]
	v_add_f64_e32 v[117:118], v[90:91], v[14:15]
	v_add_f64_e64 v[125:126], v[90:91], -v[14:15]
	s_mov_b32 s20, 0x1ea71119
	s_mov_b32 s30, 0x42a4c3d2
	s_mov_b32 s21, 0x3fe22d96
	s_mov_b32 s31, 0x3fea55e2
	v_add_f64_e32 v[121:122], v[88:89], v[12:13]
	v_add_f64_e64 v[131:132], v[88:89], -v[12:13]
	v_add_f64_e32 v[127:128], v[18:19], v[86:87]
	v_add_f64_e64 v[133:134], v[86:87], -v[18:19]
	s_mov_b32 s22, 0xb2365da1
	s_mov_b32 s23, 0xbfd6b1d8
	v_add_f64_e64 v[137:138], v[84:85], -v[16:17]
	v_add_f64_e64 v[141:142], v[82:83], -v[78:79]
	s_wait_alu 0xfffe
	v_mul_f64_e32 v[163:164], s[10:11], v[147:148]
	v_mul_f64_e32 v[165:166], s[2:3], v[149:150]
	s_mov_b32 s28, 0x66966769
	s_mov_b32 s26, 0xebaa3ed8
	;; [unrolled: 1-line block ×4, first 2 shown]
	global_wb scope:SCOPE_SE
	s_barrier_signal -1
	v_mul_f64_e32 v[151:152], s[34:35], v[111:112]
	v_mul_f64_e32 v[153:154], s[16:17], v[105:106]
	s_barrier_wait -1
	global_inv scope:SCOPE_SE
	v_mul_f64_e32 v[157:158], s[18:19], v[119:120]
	v_mul_f64_e32 v[159:160], s[14:15], v[109:110]
	;; [unrolled: 1-line block ×6, first 2 shown]
	s_wait_alu 0xfffe
	v_mul_f64_e32 v[171:172], s[28:29], v[141:142]
	v_fma_f64 v[72:73], v[145:146], s[2:3], -v[163:164]
	v_fma_f64 v[74:75], v[155:156], s[10:11], v[165:166]
	v_fma_f64 v[129:130], v[107:108], s[16:17], -v[151:152]
	v_fma_f64 v[135:136], v[115:116], s[34:35], v[153:154]
	;; [unrolled: 2-line block ×3, first 2 shown]
	v_fma_f64 v[180:181], v[131:132], s[30:31], v[167:168]
	v_fma_f64 v[178:179], v[121:122], s[20:21], -v[161:162]
	v_fma_f64 v[184:185], v[137:138], s[24:25], v[173:174]
	v_add_f64_e32 v[72:73], v[68:69], v[72:73]
	v_add_f64_e32 v[74:75], v[70:71], v[74:75]
	s_delay_alu instid0(VALU_DEP_2) | instskip(NEXT) | instid1(VALU_DEP_2)
	v_add_f64_e32 v[72:73], v[129:130], v[72:73]
	v_add_f64_e32 v[74:75], v[135:136], v[74:75]
	;; [unrolled: 1-line block ×4, first 2 shown]
	s_delay_alu instid0(VALU_DEP_4) | instskip(NEXT) | instid1(VALU_DEP_4)
	v_add_f64_e32 v[72:73], v[139:140], v[72:73]
	v_add_f64_e32 v[74:75], v[143:144], v[74:75]
	;; [unrolled: 1-line block ×3, first 2 shown]
	v_add_f64_e64 v[143:144], v[80:81], -v[76:77]
	v_mul_f64_e32 v[175:176], s[26:27], v[135:136]
	v_fma_f64 v[182:183], v[129:130], s[22:23], -v[169:170]
	v_add_f64_e32 v[72:73], v[178:179], v[72:73]
	v_add_f64_e32 v[74:75], v[180:181], v[74:75]
	v_fma_f64 v[178:179], v[139:140], s[26:27], -v[171:172]
	v_fma_f64 v[180:181], v[143:144], s[28:29], v[175:176]
	s_delay_alu instid0(VALU_DEP_4) | instskip(NEXT) | instid1(VALU_DEP_4)
	v_add_f64_e32 v[72:73], v[182:183], v[72:73]
	v_add_f64_e32 v[74:75], v[184:185], v[74:75]
	s_delay_alu instid0(VALU_DEP_2) | instskip(NEXT) | instid1(VALU_DEP_2)
	v_add_f64_e32 v[72:73], v[178:179], v[72:73]
	v_add_f64_e32 v[74:75], v[180:181], v[74:75]
	s_and_saveexec_b32 s1, vcc_lo
	s_cbranch_execz .LBB0_17
; %bb.16:
	v_add_f64_e32 v[102:103], v[70:71], v[102:103]
	v_add_f64_e32 v[100:101], v[68:69], v[100:101]
	s_mov_b32 s39, 0xbfea55e2
	s_mov_b32 s38, s30
	;; [unrolled: 1-line block ×6, first 2 shown]
	s_delay_alu instid0(VALU_DEP_2) | instskip(NEXT) | instid1(VALU_DEP_2)
	v_add_f64_e32 v[98:99], v[98:99], v[102:103]
	v_add_f64_e32 v[96:97], v[96:97], v[100:101]
	v_mul_f64_e32 v[102:103], s[18:19], v[147:148]
	s_delay_alu instid0(VALU_DEP_3) | instskip(NEXT) | instid1(VALU_DEP_3)
	v_add_f64_e32 v[94:95], v[94:95], v[98:99]
	v_add_f64_e32 v[92:93], v[92:93], v[96:97]
	s_delay_alu instid0(VALU_DEP_2) | instskip(NEXT) | instid1(VALU_DEP_2)
	v_add_f64_e32 v[90:91], v[90:91], v[94:95]
	v_add_f64_e32 v[88:89], v[88:89], v[92:93]
	s_delay_alu instid0(VALU_DEP_2) | instskip(NEXT) | instid1(VALU_DEP_2)
	v_add_f64_e32 v[86:87], v[86:87], v[90:91]
	v_add_f64_e32 v[84:85], v[84:85], v[88:89]
	v_mul_f64_e32 v[88:89], s[34:35], v[143:144]
	v_mul_f64_e32 v[90:91], s[34:35], v[141:142]
	s_delay_alu instid0(VALU_DEP_4) | instskip(NEXT) | instid1(VALU_DEP_4)
	v_add_f64_e32 v[82:83], v[82:83], v[86:87]
	v_add_f64_e32 v[80:81], v[80:81], v[84:85]
	v_mul_f64_e32 v[84:85], s[38:39], v[155:156]
	s_delay_alu instid0(VALU_DEP_3) | instskip(NEXT) | instid1(VALU_DEP_3)
	v_add_f64_e32 v[78:79], v[78:79], v[82:83]
	v_add_f64_e32 v[76:77], v[76:77], v[80:81]
	v_mul_f64_e32 v[80:81], s[34:35], v[131:132]
	v_mul_f64_e32 v[82:83], s[34:35], v[125:126]
	v_fma_f64 v[98:99], v[149:150], s[20:21], v[84:85]
	v_fma_f64 v[84:85], v[149:150], s[20:21], -v[84:85]
	v_add_f64_e32 v[18:19], v[18:19], v[78:79]
	v_add_f64_e32 v[16:17], v[16:17], v[76:77]
	v_mul_f64_e32 v[76:77], s[34:35], v[123:124]
	v_mul_f64_e32 v[78:79], s[34:35], v[119:120]
	v_add_f64_e32 v[98:99], v[70:71], v[98:99]
	v_add_f64_e32 v[190:191], v[70:71], v[84:85]
	v_mul_f64_e32 v[84:85], s[14:15], v[113:114]
	v_add_f64_e32 v[14:15], v[14:15], v[18:19]
	v_add_f64_e32 v[12:13], v[12:13], v[16:17]
	v_mul_f64_e32 v[16:17], s[24:25], v[155:156]
	v_mul_f64_e32 v[18:19], s[36:37], v[155:156]
	v_add_f64_e32 v[84:85], v[84:85], v[157:158]
	v_add_f64_e32 v[10:11], v[10:11], v[14:15]
	;; [unrolled: 1-line block ×3, first 2 shown]
	v_mul_f64_e32 v[12:13], s[34:35], v[137:138]
	v_mul_f64_e32 v[14:15], s[34:35], v[133:134]
	v_fma_f64 v[94:95], v[149:150], s[22:23], v[16:17]
	v_fma_f64 v[16:17], v[149:150], s[22:23], -v[16:17]
	v_fma_f64 v[96:97], v[149:150], s[26:27], v[18:19]
	v_fma_f64 v[18:19], v[149:150], s[26:27], -v[18:19]
	v_add_f64_e32 v[6:7], v[6:7], v[10:11]
	v_add_f64_e32 v[4:5], v[4:5], v[8:9]
	v_mul_f64_e32 v[8:9], s[34:35], v[115:116]
	s_mov_b32 s35, 0xbfddbe06
	v_mul_f64_e32 v[10:11], s[18:19], v[155:156]
	s_wait_alu 0xfffe
	v_mul_f64_e32 v[86:87], s[34:35], v[155:156]
	v_add_f64_e32 v[94:95], v[70:71], v[94:95]
	v_add_f64_e32 v[186:187], v[70:71], v[16:17]
	;; [unrolled: 1-line block ×4, first 2 shown]
	v_mul_f64_e32 v[18:19], s[30:31], v[131:132]
	v_mul_f64_e32 v[16:17], s[24:25], v[137:138]
	v_add_f64_e32 v[2:3], v[2:3], v[6:7]
	v_add_f64_e32 v[0:1], v[0:1], v[4:5]
	v_mul_f64_e32 v[4:5], s[10:11], v[155:156]
	v_mul_f64_e32 v[6:7], s[2:3], v[145:146]
	v_fma_f64 v[92:93], v[149:150], s[14:15], v[10:11]
	v_fma_f64 v[10:11], v[149:150], s[14:15], -v[10:11]
	v_fma_f64 v[100:101], v[149:150], s[16:17], v[86:87]
	v_fma_f64 v[86:87], v[149:150], s[16:17], -v[86:87]
	v_mul_f64_e32 v[149:150], s[24:25], v[147:148]
	v_mul_f64_e32 v[155:156], s[36:37], v[147:148]
	v_add_f64_e64 v[8:9], v[153:154], -v[8:9]
	v_add_f64_e64 v[18:19], v[167:168], -v[18:19]
	;; [unrolled: 1-line block ×4, first 2 shown]
	v_add_f64_e32 v[6:7], v[6:7], v[163:164]
	v_mul_f64_e32 v[163:164], s[38:39], v[147:148]
	v_mul_f64_e32 v[147:148], s[34:35], v[147:148]
	v_fma_f64 v[165:166], v[145:146], s[14:15], -v[102:103]
	v_fma_f64 v[102:103], v[145:146], s[14:15], v[102:103]
	v_fma_f64 v[178:179], v[145:146], s[22:23], -v[149:150]
	v_fma_f64 v[149:150], v[145:146], s[22:23], v[149:150]
	;; [unrolled: 2-line block ×3, first 2 shown]
	v_add_f64_e32 v[92:93], v[70:71], v[92:93]
	v_add_f64_e32 v[100:101], v[70:71], v[100:101]
	v_add_f64_e32 v[192:193], v[70:71], v[86:87]
	s_mov_b32 s35, 0x3fe5384d
	s_mov_b32 s34, s18
	v_add_f64_e32 v[4:5], v[70:71], v[4:5]
	v_add_f64_e32 v[6:7], v[68:69], v[6:7]
	v_fma_f64 v[182:183], v[145:146], s[20:21], -v[163:164]
	v_fma_f64 v[163:164], v[145:146], s[20:21], v[163:164]
	v_fma_f64 v[184:185], v[145:146], s[16:17], -v[147:148]
	v_fma_f64 v[145:146], v[145:146], s[16:17], v[147:148]
	v_add_f64_e32 v[147:148], v[68:69], v[165:166]
	v_add_f64_e32 v[165:166], v[70:71], v[10:11]
	v_mul_f64_e32 v[70:71], s[16:17], v[107:108]
	v_add_f64_e32 v[102:103], v[68:69], v[102:103]
	v_add_f64_e32 v[178:179], v[68:69], v[178:179]
	;; [unrolled: 1-line block ×5, first 2 shown]
	v_mul_f64_e32 v[10:11], s[28:29], v[143:144]
	v_add_f64_e32 v[4:5], v[8:9], v[4:5]
	v_mul_f64_e32 v[8:9], s[20:21], v[121:122]
	v_add_f64_e32 v[182:183], v[68:69], v[182:183]
	v_add_f64_e32 v[163:164], v[68:69], v[163:164]
	;; [unrolled: 1-line block ×4, first 2 shown]
	v_mul_f64_e32 v[68:69], s[18:19], v[123:124]
	v_add_f64_e32 v[70:71], v[70:71], v[151:152]
	v_mul_f64_e32 v[151:152], s[24:25], v[141:142]
	v_add_f64_e64 v[10:11], v[175:176], -v[10:11]
	v_add_f64_e32 v[8:9], v[8:9], v[161:162]
	v_add_f64_e64 v[68:69], v[159:160], -v[68:69]
	v_add_f64_e32 v[6:7], v[70:71], v[6:7]
	s_delay_alu instid0(VALU_DEP_2) | instskip(SKIP_1) | instid1(VALU_DEP_3)
	v_add_f64_e32 v[4:5], v[68:69], v[4:5]
	v_mul_f64_e32 v[68:69], s[22:23], v[129:130]
	v_add_f64_e32 v[6:7], v[84:85], v[6:7]
	s_delay_alu instid0(VALU_DEP_3) | instskip(NEXT) | instid1(VALU_DEP_3)
	v_add_f64_e32 v[4:5], v[18:19], v[4:5]
	v_add_f64_e32 v[68:69], v[68:69], v[169:170]
	s_delay_alu instid0(VALU_DEP_3) | instskip(SKIP_3) | instid1(VALU_DEP_4)
	v_add_f64_e32 v[6:7], v[8:9], v[6:7]
	v_mul_f64_e32 v[8:9], s[26:27], v[139:140]
	v_mul_f64_e32 v[18:19], s[28:29], v[111:112]
	v_add_f64_e32 v[4:5], v[16:17], v[4:5]
	v_add_f64_e32 v[16:17], v[68:69], v[6:7]
	s_delay_alu instid0(VALU_DEP_4) | instskip(SKIP_1) | instid1(VALU_DEP_4)
	v_add_f64_e32 v[8:9], v[8:9], v[171:172]
	v_mul_f64_e32 v[68:69], s[38:39], v[123:124]
	v_add_f64_e32 v[6:7], v[10:11], v[4:5]
	v_fma_f64 v[10:11], v[107:108], s[26:27], -v[18:19]
	v_fma_f64 v[18:19], v[107:108], s[26:27], v[18:19]
	v_add_f64_e32 v[4:5], v[8:9], v[16:17]
	v_mul_f64_e32 v[16:17], s[28:29], v[115:116]
	v_fma_f64 v[70:71], v[109:110], s[20:21], v[68:69]
	v_fma_f64 v[68:69], v[109:110], s[20:21], -v[68:69]
	v_add_f64_e32 v[10:11], v[10:11], v[147:148]
	v_add_f64_e32 v[18:19], v[18:19], v[102:103]
	v_mul_f64_e32 v[147:148], s[24:25], v[143:144]
	v_fma_f64 v[8:9], v[105:106], s[26:27], v[16:17]
	v_fma_f64 v[16:17], v[105:106], s[26:27], -v[16:17]
	s_delay_alu instid0(VALU_DEP_2) | instskip(NEXT) | instid1(VALU_DEP_2)
	v_add_f64_e32 v[8:9], v[8:9], v[92:93]
	v_add_f64_e32 v[16:17], v[16:17], v[165:166]
	s_delay_alu instid0(VALU_DEP_2) | instskip(SKIP_1) | instid1(VALU_DEP_3)
	v_add_f64_e32 v[8:9], v[70:71], v[8:9]
	v_mul_f64_e32 v[70:71], s[38:39], v[119:120]
	v_add_f64_e32 v[16:17], v[68:69], v[16:17]
	s_delay_alu instid0(VALU_DEP_2) | instskip(SKIP_3) | instid1(VALU_DEP_3)
	v_fma_f64 v[84:85], v[113:114], s[20:21], -v[70:71]
	v_fma_f64 v[68:69], v[113:114], s[20:21], v[70:71]
	s_wait_alu 0xfffe
	v_mul_f64_e32 v[70:71], s[34:35], v[111:112]
	v_add_f64_e32 v[10:11], v[84:85], v[10:11]
	v_mul_f64_e32 v[84:85], s[40:41], v[131:132]
	s_delay_alu instid0(VALU_DEP_4) | instskip(NEXT) | instid1(VALU_DEP_2)
	v_add_f64_e32 v[18:19], v[68:69], v[18:19]
	v_fma_f64 v[86:87], v[117:118], s[2:3], v[84:85]
	v_fma_f64 v[68:69], v[117:118], s[2:3], -v[84:85]
	v_fma_f64 v[84:85], v[109:110], s[16:17], v[76:77]
	v_fma_f64 v[76:77], v[109:110], s[16:17], -v[76:77]
	s_delay_alu instid0(VALU_DEP_4) | instskip(SKIP_2) | instid1(VALU_DEP_2)
	v_add_f64_e32 v[8:9], v[86:87], v[8:9]
	v_mul_f64_e32 v[86:87], s[40:41], v[125:126]
	v_add_f64_e32 v[16:17], v[68:69], v[16:17]
	v_fma_f64 v[92:93], v[121:122], s[2:3], -v[86:87]
	v_fma_f64 v[68:69], v[121:122], s[2:3], v[86:87]
	s_delay_alu instid0(VALU_DEP_2) | instskip(SKIP_1) | instid1(VALU_DEP_3)
	v_add_f64_e32 v[10:11], v[92:93], v[10:11]
	v_fma_f64 v[92:93], v[127:128], s[16:17], v[12:13]
	v_add_f64_e32 v[18:19], v[68:69], v[18:19]
	v_fma_f64 v[12:13], v[127:128], s[16:17], -v[12:13]
	v_mul_f64_e32 v[68:69], s[34:35], v[115:116]
	s_delay_alu instid0(VALU_DEP_4) | instskip(SKIP_3) | instid1(VALU_DEP_3)
	v_add_f64_e32 v[8:9], v[92:93], v[8:9]
	v_fma_f64 v[92:93], v[129:130], s[16:17], -v[14:15]
	v_fma_f64 v[14:15], v[129:130], s[16:17], v[14:15]
	v_add_f64_e32 v[12:13], v[12:13], v[16:17]
	v_add_f64_e32 v[92:93], v[92:93], v[10:11]
	s_delay_alu instid0(VALU_DEP_3) | instskip(SKIP_4) | instid1(VALU_DEP_4)
	v_add_f64_e32 v[16:17], v[14:15], v[18:19]
	v_fma_f64 v[14:15], v[135:136], s[22:23], -v[147:148]
	v_fma_f64 v[18:19], v[139:140], s[22:23], v[151:152]
	v_fma_f64 v[10:11], v[135:136], s[22:23], v[147:148]
	v_mul_f64_e32 v[147:148], s[30:31], v[143:144]
	v_add_f64_e32 v[14:15], v[14:15], v[12:13]
	s_delay_alu instid0(VALU_DEP_4)
	v_add_f64_e32 v[12:13], v[18:19], v[16:17]
	v_fma_f64 v[16:17], v[105:106], s[14:15], v[68:69]
	v_fma_f64 v[18:19], v[107:108], s[14:15], -v[70:71]
	v_fma_f64 v[68:69], v[105:106], s[14:15], -v[68:69]
	v_add_f64_e32 v[10:11], v[10:11], v[8:9]
	v_fma_f64 v[8:9], v[139:140], s[22:23], -v[151:152]
	v_fma_f64 v[70:71], v[107:108], s[14:15], v[70:71]
	v_mul_f64_e32 v[151:152], s[30:31], v[141:142]
	s_mov_b32 s31, 0x3fedeba7
	s_mov_b32 s30, s24
	v_add_f64_e32 v[16:17], v[16:17], v[94:95]
	v_add_f64_e32 v[18:19], v[18:19], v[178:179]
	v_add_f64_e32 v[68:69], v[68:69], v[186:187]
	v_add_f64_e32 v[8:9], v[8:9], v[92:93]
	v_add_f64_e32 v[70:71], v[70:71], v[149:150]
	v_mul_f64_e32 v[149:150], s[18:19], v[143:144]
	v_add_f64_e32 v[16:17], v[84:85], v[16:17]
	v_fma_f64 v[84:85], v[113:114], s[16:17], -v[78:79]
	v_add_f64_e32 v[68:69], v[76:77], v[68:69]
	v_fma_f64 v[76:77], v[113:114], s[16:17], v[78:79]
	v_fma_f64 v[78:79], v[139:140], s[20:21], v[151:152]
	s_delay_alu instid0(VALU_DEP_4) | instskip(SKIP_1) | instid1(VALU_DEP_4)
	v_add_f64_e32 v[18:19], v[84:85], v[18:19]
	v_mul_f64_e32 v[84:85], s[36:37], v[131:132]
	v_add_f64_e32 v[70:71], v[76:77], v[70:71]
	s_delay_alu instid0(VALU_DEP_2) | instskip(SKIP_2) | instid1(VALU_DEP_3)
	v_fma_f64 v[86:87], v[117:118], s[26:27], v[84:85]
	v_fma_f64 v[76:77], v[117:118], s[26:27], -v[84:85]
	v_mul_f64_e32 v[84:85], s[10:11], v[115:116]
	v_add_f64_e32 v[16:17], v[86:87], v[16:17]
	v_mul_f64_e32 v[86:87], s[36:37], v[125:126]
	s_delay_alu instid0(VALU_DEP_4) | instskip(NEXT) | instid1(VALU_DEP_2)
	v_add_f64_e32 v[68:69], v[76:77], v[68:69]
	v_fma_f64 v[92:93], v[121:122], s[26:27], -v[86:87]
	v_fma_f64 v[76:77], v[121:122], s[26:27], v[86:87]
	v_mul_f64_e32 v[86:87], s[10:11], v[111:112]
	s_delay_alu instid0(VALU_DEP_3) | instskip(SKIP_1) | instid1(VALU_DEP_4)
	v_add_f64_e32 v[18:19], v[92:93], v[18:19]
	v_mul_f64_e32 v[92:93], s[40:41], v[137:138]
	v_add_f64_e32 v[70:71], v[76:77], v[70:71]
	s_delay_alu instid0(VALU_DEP_2) | instskip(SKIP_3) | instid1(VALU_DEP_3)
	v_fma_f64 v[94:95], v[127:128], s[2:3], v[92:93]
	v_fma_f64 v[76:77], v[127:128], s[2:3], -v[92:93]
	s_wait_alu 0xfffe
	v_mul_f64_e32 v[92:93], s[30:31], v[123:124]
	v_add_f64_e32 v[16:17], v[94:95], v[16:17]
	v_mul_f64_e32 v[94:95], s[40:41], v[133:134]
	s_delay_alu instid0(VALU_DEP_4) | instskip(NEXT) | instid1(VALU_DEP_2)
	v_add_f64_e32 v[68:69], v[76:77], v[68:69]
	v_fma_f64 v[76:77], v[129:130], s[2:3], v[94:95]
	v_fma_f64 v[102:103], v[129:130], s[2:3], -v[94:95]
	v_fma_f64 v[94:95], v[109:110], s[22:23], v[92:93]
	v_fma_f64 v[92:93], v[109:110], s[22:23], -v[92:93]
	s_delay_alu instid0(VALU_DEP_4) | instskip(SKIP_3) | instid1(VALU_DEP_3)
	v_add_f64_e32 v[76:77], v[76:77], v[70:71]
	v_fma_f64 v[70:71], v[135:136], s[20:21], -v[147:148]
	v_add_f64_e32 v[102:103], v[102:103], v[18:19]
	v_fma_f64 v[18:19], v[135:136], s[20:21], v[147:148]
	v_add_f64_e32 v[70:71], v[70:71], v[68:69]
	v_add_f64_e32 v[68:69], v[78:79], v[76:77]
	v_fma_f64 v[76:77], v[105:106], s[2:3], v[84:85]
	v_fma_f64 v[78:79], v[107:108], s[2:3], -v[86:87]
	v_fma_f64 v[84:85], v[105:106], s[2:3], -v[84:85]
	v_add_f64_e32 v[18:19], v[18:19], v[16:17]
	v_fma_f64 v[16:17], v[139:140], s[20:21], -v[151:152]
	v_fma_f64 v[86:87], v[107:108], s[2:3], v[86:87]
	v_mul_f64_e32 v[151:152], s[18:19], v[141:142]
	v_add_f64_e32 v[76:77], v[76:77], v[96:97]
	v_add_f64_e32 v[78:79], v[78:79], v[180:181]
	;; [unrolled: 1-line block ×6, first 2 shown]
	v_mul_f64_e32 v[94:95], s[30:31], v[119:120]
	v_add_f64_e32 v[84:85], v[92:93], v[84:85]
	s_delay_alu instid0(VALU_DEP_2) | instskip(SKIP_2) | instid1(VALU_DEP_3)
	v_fma_f64 v[96:97], v[113:114], s[22:23], -v[94:95]
	v_fma_f64 v[92:93], v[113:114], s[22:23], v[94:95]
	v_mul_f64_e32 v[94:95], s[24:25], v[111:112]
	v_add_f64_e32 v[78:79], v[96:97], v[78:79]
	v_fma_f64 v[96:97], v[117:118], s[16:17], v[80:81]
	v_fma_f64 v[80:81], v[117:118], s[16:17], -v[80:81]
	v_add_f64_e32 v[86:87], v[92:93], v[86:87]
	v_mul_f64_e32 v[92:93], s[24:25], v[115:116]
	s_delay_alu instid0(VALU_DEP_4) | instskip(SKIP_3) | instid1(VALU_DEP_3)
	v_add_f64_e32 v[76:77], v[96:97], v[76:77]
	v_fma_f64 v[96:97], v[121:122], s[16:17], -v[82:83]
	v_add_f64_e32 v[80:81], v[80:81], v[84:85]
	v_fma_f64 v[82:83], v[121:122], s[16:17], v[82:83]
	v_add_f64_e32 v[78:79], v[96:97], v[78:79]
	v_mul_f64_e32 v[96:97], s[38:39], v[137:138]
	s_delay_alu instid0(VALU_DEP_3) | instskip(SKIP_1) | instid1(VALU_DEP_3)
	v_add_f64_e32 v[82:83], v[82:83], v[86:87]
	v_fma_f64 v[86:87], v[139:140], s[14:15], v[151:152]
	v_fma_f64 v[102:103], v[127:128], s[20:21], v[96:97]
	v_fma_f64 v[84:85], v[127:128], s[20:21], -v[96:97]
	v_mul_f64_e32 v[96:97], s[10:11], v[123:124]
	s_delay_alu instid0(VALU_DEP_3) | instskip(SKIP_1) | instid1(VALU_DEP_4)
	v_add_f64_e32 v[76:77], v[102:103], v[76:77]
	v_mul_f64_e32 v[102:103], s[38:39], v[133:134]
	v_add_f64_e32 v[80:81], v[84:85], v[80:81]
	s_delay_alu instid0(VALU_DEP_2) | instskip(SKIP_1) | instid1(VALU_DEP_2)
	v_fma_f64 v[84:85], v[129:130], s[20:21], v[102:103]
	v_fma_f64 v[147:148], v[129:130], s[20:21], -v[102:103]
	v_add_f64_e32 v[84:85], v[84:85], v[82:83]
	v_fma_f64 v[82:83], v[135:136], s[14:15], -v[149:150]
	s_delay_alu instid0(VALU_DEP_3) | instskip(SKIP_1) | instid1(VALU_DEP_3)
	v_add_f64_e32 v[147:148], v[147:148], v[78:79]
	v_fma_f64 v[78:79], v[135:136], s[14:15], v[149:150]
	v_add_f64_e32 v[82:83], v[82:83], v[80:81]
	v_add_f64_e32 v[80:81], v[86:87], v[84:85]
	v_fma_f64 v[84:85], v[105:106], s[22:23], v[92:93]
	v_fma_f64 v[86:87], v[107:108], s[22:23], -v[94:95]
	v_add_f64_e32 v[78:79], v[78:79], v[76:77]
	v_fma_f64 v[76:77], v[139:140], s[14:15], -v[151:152]
	v_fma_f64 v[92:93], v[105:106], s[22:23], -v[92:93]
	v_fma_f64 v[94:95], v[107:108], s[22:23], v[94:95]
	v_add_f64_e32 v[84:85], v[84:85], v[98:99]
	v_fma_f64 v[98:99], v[109:110], s[2:3], v[96:97]
	v_add_f64_e32 v[86:87], v[86:87], v[182:183]
	v_add_f64_e32 v[76:77], v[76:77], v[147:148]
	;; [unrolled: 1-line block ×3, first 2 shown]
	v_fma_f64 v[96:97], v[109:110], s[2:3], -v[96:97]
	v_add_f64_e32 v[94:95], v[94:95], v[163:164]
	v_add_f64_e32 v[84:85], v[98:99], v[84:85]
	v_mul_f64_e32 v[98:99], s[10:11], v[119:120]
	s_delay_alu instid0(VALU_DEP_4) | instskip(NEXT) | instid1(VALU_DEP_2)
	v_add_f64_e32 v[92:93], v[96:97], v[92:93]
	v_fma_f64 v[102:103], v[113:114], s[2:3], -v[98:99]
	v_fma_f64 v[96:97], v[113:114], s[2:3], v[98:99]
	v_mul_f64_e32 v[98:99], s[38:39], v[111:112]
	s_delay_alu instid0(VALU_DEP_3) | instskip(SKIP_1) | instid1(VALU_DEP_4)
	v_add_f64_e32 v[86:87], v[102:103], v[86:87]
	v_mul_f64_e32 v[102:103], s[34:35], v[131:132]
	v_add_f64_e32 v[94:95], v[96:97], v[94:95]
	s_delay_alu instid0(VALU_DEP_2) | instskip(SKIP_2) | instid1(VALU_DEP_3)
	v_fma_f64 v[147:148], v[117:118], s[14:15], v[102:103]
	v_fma_f64 v[96:97], v[117:118], s[14:15], -v[102:103]
	v_mul_f64_e32 v[102:103], s[36:37], v[123:124]
	v_add_f64_e32 v[84:85], v[147:148], v[84:85]
	v_mul_f64_e32 v[147:148], s[34:35], v[125:126]
	s_delay_alu instid0(VALU_DEP_4) | instskip(NEXT) | instid1(VALU_DEP_4)
	v_add_f64_e32 v[92:93], v[96:97], v[92:93]
	v_fma_f64 v[111:112], v[109:110], s[26:27], -v[102:103]
	v_fma_f64 v[102:103], v[109:110], s[26:27], v[102:103]
	s_delay_alu instid0(VALU_DEP_4) | instskip(SKIP_1) | instid1(VALU_DEP_2)
	v_fma_f64 v[149:150], v[121:122], s[14:15], -v[147:148]
	v_fma_f64 v[96:97], v[121:122], s[14:15], v[147:148]
	v_add_f64_e32 v[86:87], v[149:150], v[86:87]
	v_mul_f64_e32 v[149:150], s[28:29], v[137:138]
	s_delay_alu instid0(VALU_DEP_3) | instskip(NEXT) | instid1(VALU_DEP_2)
	v_add_f64_e32 v[94:95], v[96:97], v[94:95]
	v_fma_f64 v[151:152], v[127:128], s[26:27], v[149:150]
	v_fma_f64 v[96:97], v[127:128], s[26:27], -v[149:150]
	s_delay_alu instid0(VALU_DEP_2) | instskip(SKIP_1) | instid1(VALU_DEP_3)
	v_add_f64_e32 v[84:85], v[151:152], v[84:85]
	v_mul_f64_e32 v[151:152], s[28:29], v[133:134]
	v_add_f64_e32 v[92:93], v[96:97], v[92:93]
	s_delay_alu instid0(VALU_DEP_2) | instskip(SKIP_1) | instid1(VALU_DEP_2)
	v_fma_f64 v[153:154], v[129:130], s[26:27], -v[151:152]
	v_fma_f64 v[96:97], v[129:130], s[26:27], v[151:152]
	v_add_f64_e32 v[153:154], v[153:154], v[86:87]
	v_fma_f64 v[86:87], v[135:136], s[16:17], v[88:89]
	s_delay_alu instid0(VALU_DEP_3) | instskip(SKIP_2) | instid1(VALU_DEP_4)
	v_add_f64_e32 v[94:95], v[96:97], v[94:95]
	v_fma_f64 v[88:89], v[135:136], s[16:17], -v[88:89]
	v_fma_f64 v[96:97], v[139:140], s[16:17], v[90:91]
	v_add_f64_e32 v[86:87], v[86:87], v[84:85]
	v_fma_f64 v[84:85], v[139:140], s[16:17], -v[90:91]
	s_delay_alu instid0(VALU_DEP_4) | instskip(NEXT) | instid1(VALU_DEP_4)
	v_add_f64_e32 v[90:91], v[88:89], v[92:93]
	v_add_f64_e32 v[88:89], v[96:97], v[94:95]
	v_mul_f64_e32 v[96:97], s[38:39], v[115:116]
	v_fma_f64 v[94:95], v[107:108], s[20:21], v[98:99]
	v_fma_f64 v[98:99], v[107:108], s[20:21], -v[98:99]
	v_add_f64_e32 v[84:85], v[84:85], v[153:154]
	s_delay_alu instid0(VALU_DEP_4) | instskip(NEXT) | instid1(VALU_DEP_4)
	v_fma_f64 v[92:93], v[105:106], s[20:21], -v[96:97]
	v_add_f64_e32 v[94:95], v[94:95], v[145:146]
	v_fma_f64 v[96:97], v[105:106], s[20:21], v[96:97]
	v_add_f64_e32 v[98:99], v[98:99], v[184:185]
	s_delay_alu instid0(VALU_DEP_4) | instskip(NEXT) | instid1(VALU_DEP_3)
	v_add_f64_e32 v[92:93], v[92:93], v[192:193]
	v_add_f64_e32 v[96:97], v[96:97], v[100:101]
	s_delay_alu instid0(VALU_DEP_2) | instskip(SKIP_1) | instid1(VALU_DEP_3)
	v_add_f64_e32 v[92:93], v[111:112], v[92:93]
	v_mul_f64_e32 v[111:112], s[36:37], v[119:120]
	v_add_f64_e32 v[96:97], v[102:103], v[96:97]
	s_delay_alu instid0(VALU_DEP_2) | instskip(SKIP_1) | instid1(VALU_DEP_2)
	v_fma_f64 v[115:116], v[113:114], s[26:27], v[111:112]
	v_fma_f64 v[105:106], v[113:114], s[26:27], -v[111:112]
	v_add_f64_e32 v[94:95], v[115:116], v[94:95]
	v_mul_f64_e32 v[115:116], s[24:25], v[131:132]
	s_delay_alu instid0(VALU_DEP_3) | instskip(NEXT) | instid1(VALU_DEP_2)
	v_add_f64_e32 v[98:99], v[105:106], v[98:99]
	v_fma_f64 v[119:120], v[117:118], s[22:23], -v[115:116]
	v_fma_f64 v[100:101], v[117:118], s[22:23], v[115:116]
	s_delay_alu instid0(VALU_DEP_2) | instskip(SKIP_1) | instid1(VALU_DEP_3)
	v_add_f64_e32 v[92:93], v[119:120], v[92:93]
	v_mul_f64_e32 v[119:120], s[24:25], v[125:126]
	v_add_f64_e32 v[96:97], v[100:101], v[96:97]
	s_delay_alu instid0(VALU_DEP_2) | instskip(SKIP_1) | instid1(VALU_DEP_2)
	v_fma_f64 v[123:124], v[121:122], s[22:23], v[119:120]
	v_fma_f64 v[107:108], v[121:122], s[22:23], -v[119:120]
	v_add_f64_e32 v[94:95], v[123:124], v[94:95]
	v_mul_f64_e32 v[123:124], s[18:19], v[137:138]
	v_mul_f64_e32 v[137:138], s[10:11], v[141:142]
	s_delay_alu instid0(VALU_DEP_4) | instskip(NEXT) | instid1(VALU_DEP_3)
	v_add_f64_e32 v[98:99], v[107:108], v[98:99]
	v_fma_f64 v[125:126], v[127:128], s[14:15], -v[123:124]
	v_fma_f64 v[102:103], v[127:128], s[14:15], v[123:124]
	s_delay_alu instid0(VALU_DEP_4) | instskip(NEXT) | instid1(VALU_DEP_3)
	v_fma_f64 v[107:108], v[139:140], s[2:3], -v[137:138]
	v_add_f64_e32 v[92:93], v[125:126], v[92:93]
	v_mul_f64_e32 v[125:126], s[18:19], v[133:134]
	v_mul_f64_e32 v[133:134], s[10:11], v[143:144]
	v_add_f64_e32 v[96:97], v[102:103], v[96:97]
	s_delay_alu instid0(VALU_DEP_3) | instskip(SKIP_1) | instid1(VALU_DEP_4)
	v_fma_f64 v[131:132], v[129:130], s[14:15], v[125:126]
	v_fma_f64 v[105:106], v[129:130], s[14:15], -v[125:126]
	v_fma_f64 v[100:101], v[135:136], s[2:3], v[133:134]
	s_delay_alu instid0(VALU_DEP_3) | instskip(SKIP_1) | instid1(VALU_DEP_4)
	v_add_f64_e32 v[131:132], v[131:132], v[94:95]
	v_fma_f64 v[94:95], v[135:136], s[2:3], -v[133:134]
	v_add_f64_e32 v[102:103], v[105:106], v[98:99]
	s_delay_alu instid0(VALU_DEP_4) | instskip(SKIP_1) | instid1(VALU_DEP_1)
	v_add_f64_e32 v[98:99], v[100:101], v[96:97]
	v_and_b32_e32 v100, 0xffff, v248
	v_lshlrev_b32_e32 v100, 4, v100
	v_add_f64_e32 v[94:95], v[94:95], v[92:93]
	v_fma_f64 v[92:93], v[139:140], s[2:3], v[137:138]
	v_add_f64_e32 v[96:97], v[107:108], v[102:103]
	s_delay_alu instid0(VALU_DEP_2)
	v_add_f64_e32 v[92:93], v[92:93], v[131:132]
	ds_store_b128 v100, v[68:71] offset:64
	ds_store_b128 v100, v[12:15] offset:80
	;; [unrolled: 1-line block ×11, first 2 shown]
	ds_store_b128 v100, v[0:3]
	ds_store_b128 v100, v[96:99] offset:192
.LBB0_17:
	s_wait_alu 0xfffe
	s_or_b32 exec_lo, exec_lo, s1
	global_wb scope:SCOPE_SE
	s_wait_dscnt 0x0
	s_barrier_signal -1
	s_barrier_wait -1
	global_inv scope:SCOPE_SE
	ds_load_b128 v[0:3], v246 offset:832
	ds_load_b128 v[4:7], v246 offset:1664
	;; [unrolled: 1-line block ×6, first 2 shown]
	s_mov_b32 s2, 0x37e14327
	s_mov_b32 s3, 0x3fe948f6
	;; [unrolled: 1-line block ×10, first 2 shown]
	s_wait_dscnt 0x5
	v_mul_f64_e32 v[76:77], v[26:27], v[2:3]
	v_mul_f64_e32 v[26:27], v[26:27], v[0:1]
	s_wait_dscnt 0x4
	v_mul_f64_e32 v[78:79], v[22:23], v[6:7]
	v_mul_f64_e32 v[22:23], v[22:23], v[4:5]
	;; [unrolled: 3-line block ×6, first 2 shown]
	v_fma_f64 v[0:1], v[24:25], v[0:1], v[76:77]
	v_fma_f64 v[2:3], v[24:25], v[2:3], -v[26:27]
	v_fma_f64 v[4:5], v[20:21], v[4:5], v[78:79]
	v_fma_f64 v[6:7], v[20:21], v[6:7], -v[22:23]
	;; [unrolled: 2-line block ×6, first 2 shown]
	v_add_f64_e32 v[24:25], v[0:1], v[8:9]
	v_add_f64_e32 v[26:27], v[2:3], v[10:11]
	v_add_f64_e32 v[28:29], v[4:5], v[12:13]
	v_add_f64_e32 v[30:31], v[6:7], v[14:15]
	v_add_f64_e64 v[4:5], v[4:5], -v[12:13]
	v_add_f64_e64 v[6:7], v[6:7], -v[14:15]
	v_add_f64_e32 v[32:33], v[16:17], v[20:21]
	v_add_f64_e32 v[34:35], v[18:19], v[22:23]
	v_add_f64_e64 v[12:13], v[20:21], -v[16:17]
	v_add_f64_e64 v[14:15], v[22:23], -v[18:19]
	;; [unrolled: 1-line block ×4, first 2 shown]
	v_add_f64_e32 v[0:1], v[28:29], v[24:25]
	v_add_f64_e32 v[2:3], v[30:31], v[26:27]
	v_add_f64_e64 v[16:17], v[24:25], -v[32:33]
	v_add_f64_e64 v[18:19], v[26:27], -v[34:35]
	;; [unrolled: 1-line block ×10, first 2 shown]
	v_add_f64_e32 v[4:5], v[12:13], v[4:5]
	v_add_f64_e32 v[6:7], v[14:15], v[6:7]
	v_add_f64_e64 v[28:29], v[8:9], -v[12:13]
	v_add_f64_e64 v[70:71], v[10:11], -v[14:15]
	v_add_f64_e32 v[32:33], v[32:33], v[0:1]
	v_add_f64_e32 v[34:35], v[34:35], v[2:3]
	ds_load_b128 v[0:3], v246
	global_wb scope:SCOPE_SE
	s_wait_dscnt 0x0
	s_wait_alu 0xfffe
	v_mul_f64_e32 v[16:17], s[2:3], v[16:17]
	v_mul_f64_e32 v[18:19], s[2:3], v[18:19]
	s_mov_b32 s2, 0x429ad128
	v_mul_f64_e32 v[30:31], s[10:11], v[20:21]
	v_mul_f64_e32 v[68:69], s[10:11], v[22:23]
	;; [unrolled: 1-line block ×4, first 2 shown]
	s_mov_b32 s3, 0xbfebfeb5
	s_mov_b32 s14, 0xaaaaaaaa
	s_wait_alu 0xfffe
	v_mul_f64_e32 v[76:77], s[2:3], v[40:41]
	v_mul_f64_e32 v[78:79], s[2:3], v[42:43]
	s_mov_b32 s15, 0xbff2aaaa
	s_barrier_signal -1
	s_barrier_wait -1
	global_inv scope:SCOPE_SE
	v_add_f64_e32 v[12:13], v[0:1], v[32:33]
	v_add_f64_e32 v[14:15], v[2:3], v[34:35]
	;; [unrolled: 1-line block ×4, first 2 shown]
	v_fma_f64 v[4:5], v[20:21], s[10:11], v[16:17]
	v_fma_f64 v[6:7], v[22:23], s[10:11], v[18:19]
	v_fma_f64 v[8:9], v[24:25], s[16:17], -v[30:31]
	v_fma_f64 v[10:11], v[26:27], s[16:17], -v[68:69]
	s_mov_b32 s17, 0xbfe77f67
	v_fma_f64 v[20:21], v[28:29], s[18:19], v[36:37]
	v_fma_f64 v[22:23], v[70:71], s[18:19], v[38:39]
	s_mov_b32 s19, 0x3fd5d0dc
	v_fma_f64 v[30:31], v[40:41], s[2:3], -v[36:37]
	v_fma_f64 v[36:37], v[42:43], s[2:3], -v[38:39]
	s_wait_alu 0xfffe
	v_fma_f64 v[28:29], v[28:29], s[18:19], -v[76:77]
	v_fma_f64 v[38:39], v[70:71], s[18:19], -v[78:79]
	;; [unrolled: 1-line block ×4, first 2 shown]
	s_mov_b32 s2, 0x37c3f68c
	s_mov_b32 s3, 0xbfdc38aa
	v_fma_f64 v[32:33], v[32:33], s[14:15], v[12:13]
	v_fma_f64 v[34:35], v[34:35], s[14:15], v[14:15]
	s_wait_alu 0xfffe
	v_fma_f64 v[40:41], v[0:1], s[2:3], v[20:21]
	v_fma_f64 v[42:43], v[2:3], s[2:3], v[22:23]
	;; [unrolled: 1-line block ×6, first 2 shown]
	v_add_f64_e32 v[68:69], v[4:5], v[32:33]
	v_add_f64_e32 v[70:71], v[6:7], v[34:35]
	;; [unrolled: 1-line block ×7, first 2 shown]
	v_add_f64_e64 v[18:19], v[70:71], -v[40:41]
	v_add_f64_e32 v[20:21], v[38:39], v[4:5]
	v_add_f64_e64 v[22:23], v[6:7], -v[28:29]
	v_add_f64_e64 v[24:25], v[0:1], -v[36:37]
	v_add_f64_e32 v[26:27], v[30:31], v[2:3]
	v_add_f64_e32 v[0:1], v[36:37], v[0:1]
	v_add_f64_e64 v[2:3], v[2:3], -v[30:31]
	v_add_f64_e64 v[4:5], v[4:5], -v[38:39]
	v_add_f64_e32 v[6:7], v[28:29], v[6:7]
	v_add_f64_e64 v[8:9], v[68:69], -v[42:43]
	v_add_f64_e32 v[10:11], v[40:41], v[70:71]
	ds_store_b128 v177, v[12:15]
	ds_store_b128 v177, v[16:19] offset:208
	ds_store_b128 v177, v[20:23] offset:416
	;; [unrolled: 1-line block ×6, first 2 shown]
	global_wb scope:SCOPE_SE
	s_wait_dscnt 0x0
	s_barrier_signal -1
	s_barrier_wait -1
	global_inv scope:SCOPE_SE
	ds_load_b128 v[12:15], v246
	ds_load_b128 v[24:27], v246 offset:1456
	ds_load_b128 v[20:23], v246 offset:2912
	;; [unrolled: 1-line block ×3, first 2 shown]
	s_and_saveexec_b32 s1, s0
	s_cbranch_execz .LBB0_19
; %bb.18:
	ds_load_b128 v[0:3], v246 offset:832
	ds_load_b128 v[4:7], v246 offset:2288
	;; [unrolled: 1-line block ×4, first 2 shown]
.LBB0_19:
	s_wait_alu 0xfffe
	s_or_b32 exec_lo, exec_lo, s1
	s_wait_dscnt 0x2
	v_mul_f64_e32 v[28:29], v[62:63], v[26:27]
	v_mul_f64_e32 v[30:31], v[62:63], v[24:25]
	s_wait_dscnt 0x1
	v_mul_f64_e32 v[32:33], v[66:67], v[22:23]
	v_mul_f64_e32 v[34:35], v[66:67], v[20:21]
	;; [unrolled: 3-line block ×3, first 2 shown]
	v_fma_f64 v[24:25], v[60:61], v[24:25], v[28:29]
	v_fma_f64 v[26:27], v[60:61], v[26:27], -v[30:31]
	v_fma_f64 v[20:21], v[64:65], v[20:21], v[32:33]
	v_fma_f64 v[22:23], v[64:65], v[22:23], -v[34:35]
	;; [unrolled: 2-line block ×3, first 2 shown]
	s_delay_alu instid0(VALU_DEP_4) | instskip(NEXT) | instid1(VALU_DEP_4)
	v_add_f64_e64 v[20:21], v[12:13], -v[20:21]
	v_add_f64_e64 v[22:23], v[14:15], -v[22:23]
	s_delay_alu instid0(VALU_DEP_4) | instskip(NEXT) | instid1(VALU_DEP_4)
	v_add_f64_e64 v[28:29], v[24:25], -v[16:17]
	v_add_f64_e64 v[16:17], v[26:27], -v[18:19]
	s_delay_alu instid0(VALU_DEP_4) | instskip(NEXT) | instid1(VALU_DEP_4)
	v_fma_f64 v[30:31], v[12:13], 2.0, -v[20:21]
	v_fma_f64 v[32:33], v[14:15], 2.0, -v[22:23]
	s_delay_alu instid0(VALU_DEP_4) | instskip(NEXT) | instid1(VALU_DEP_4)
	v_fma_f64 v[14:15], v[24:25], 2.0, -v[28:29]
	v_fma_f64 v[18:19], v[26:27], 2.0, -v[16:17]
	v_add_f64_e32 v[12:13], v[20:21], v[16:17]
	s_delay_alu instid0(VALU_DEP_3) | instskip(NEXT) | instid1(VALU_DEP_3)
	v_add_f64_e64 v[16:17], v[30:31], -v[14:15]
	v_add_f64_e64 v[18:19], v[32:33], -v[18:19]
	;; [unrolled: 1-line block ×3, first 2 shown]
	s_delay_alu instid0(VALU_DEP_4) | instskip(NEXT) | instid1(VALU_DEP_4)
	v_fma_f64 v[20:21], v[20:21], 2.0, -v[12:13]
	v_fma_f64 v[24:25], v[30:31], 2.0, -v[16:17]
	s_delay_alu instid0(VALU_DEP_4) | instskip(NEXT) | instid1(VALU_DEP_4)
	v_fma_f64 v[26:27], v[32:33], 2.0, -v[18:19]
	v_fma_f64 v[22:23], v[22:23], 2.0, -v[14:15]
	ds_store_b128 v246, v[24:27]
	ds_store_b128 v246, v[20:23] offset:1456
	ds_store_b128 v246, v[16:19] offset:2912
	;; [unrolled: 1-line block ×3, first 2 shown]
	s_and_saveexec_b32 s1, s0
	s_cbranch_execz .LBB0_21
; %bb.20:
	v_mul_f64_e32 v[12:13], v[50:51], v[8:9]
	v_mul_f64_e32 v[14:15], v[54:55], v[6:7]
	;; [unrolled: 1-line block ×6, first 2 shown]
	v_fma_f64 v[10:11], v[48:49], v[10:11], -v[12:13]
	v_fma_f64 v[4:5], v[52:53], v[4:5], v[14:15]
	v_fma_f64 v[6:7], v[52:53], v[6:7], -v[16:17]
	v_fma_f64 v[12:13], v[44:45], v[74:75], -v[18:19]
	v_fma_f64 v[8:9], v[48:49], v[8:9], v[20:21]
	v_fma_f64 v[14:15], v[44:45], v[72:73], v[22:23]
	v_add_f64_e64 v[10:11], v[2:3], -v[10:11]
	s_delay_alu instid0(VALU_DEP_4) | instskip(NEXT) | instid1(VALU_DEP_4)
	v_add_f64_e64 v[12:13], v[6:7], -v[12:13]
	v_add_f64_e64 v[8:9], v[0:1], -v[8:9]
	s_delay_alu instid0(VALU_DEP_4) | instskip(NEXT) | instid1(VALU_DEP_4)
	v_add_f64_e64 v[14:15], v[4:5], -v[14:15]
	v_fma_f64 v[16:17], v[2:3], 2.0, -v[10:11]
	s_delay_alu instid0(VALU_DEP_4) | instskip(NEXT) | instid1(VALU_DEP_4)
	v_fma_f64 v[6:7], v[6:7], 2.0, -v[12:13]
	v_fma_f64 v[18:19], v[0:1], 2.0, -v[8:9]
	s_delay_alu instid0(VALU_DEP_4) | instskip(SKIP_1) | instid1(VALU_DEP_4)
	v_fma_f64 v[0:1], v[4:5], 2.0, -v[14:15]
	v_add_f64_e64 v[2:3], v[10:11], -v[14:15]
	v_add_f64_e64 v[6:7], v[16:17], -v[6:7]
	s_delay_alu instid0(VALU_DEP_3) | instskip(SKIP_1) | instid1(VALU_DEP_4)
	v_add_f64_e64 v[4:5], v[18:19], -v[0:1]
	v_add_f64_e32 v[0:1], v[8:9], v[12:13]
	v_fma_f64 v[10:11], v[10:11], 2.0, -v[2:3]
	s_delay_alu instid0(VALU_DEP_4) | instskip(NEXT) | instid1(VALU_DEP_4)
	v_fma_f64 v[14:15], v[16:17], 2.0, -v[6:7]
	v_fma_f64 v[12:13], v[18:19], 2.0, -v[4:5]
	s_delay_alu instid0(VALU_DEP_4)
	v_fma_f64 v[8:9], v[8:9], 2.0, -v[0:1]
	ds_store_b128 v246, v[12:15] offset:832
	ds_store_b128 v246, v[8:11] offset:2288
	;; [unrolled: 1-line block ×4, first 2 shown]
.LBB0_21:
	s_wait_alu 0xfffe
	s_or_b32 exec_lo, exec_lo, s1
	global_wb scope:SCOPE_SE
	s_wait_dscnt 0x0
	s_barrier_signal -1
	s_barrier_wait -1
	global_inv scope:SCOPE_SE
	s_and_b32 exec_lo, exec_lo, vcc_lo
	s_cbranch_execz .LBB0_23
; %bb.22:
	s_clause 0xc
	global_load_b128 v[0:3], v246, s[12:13]
	global_load_b128 v[4:7], v246, s[12:13] offset:448
	global_load_b128 v[8:11], v246, s[12:13] offset:896
	global_load_b128 v[12:15], v246, s[12:13] offset:1344
	global_load_b128 v[16:19], v246, s[12:13] offset:1792
	global_load_b128 v[20:23], v246, s[12:13] offset:2240
	global_load_b128 v[24:27], v246, s[12:13] offset:2688
	global_load_b128 v[28:31], v246, s[12:13] offset:3136
	global_load_b128 v[32:35], v246, s[12:13] offset:3584
	global_load_b128 v[36:39], v246, s[12:13] offset:4032
	global_load_b128 v[40:43], v246, s[12:13] offset:4480
	global_load_b128 v[44:47], v246, s[12:13] offset:4928
	global_load_b128 v[48:51], v246, s[12:13] offset:5376
	v_mad_co_u64_u32 v[60:61], null, s4, v247, 0
	v_mad_co_u64_u32 v[52:53], null, s6, v104, 0
	s_mul_u64 s[0:1], s[4:5], 0x1c0
	s_mov_b32 s2, 0x16816817
	s_mov_b32 s3, 0x3f668168
	s_delay_alu instid0(VALU_DEP_2) | instskip(NEXT) | instid1(VALU_DEP_1)
	v_mov_b32_e32 v54, v61
	v_mad_co_u64_u32 v[55:56], null, s7, v104, v[53:54]
	s_delay_alu instid0(VALU_DEP_1) | instskip(SKIP_1) | instid1(VALU_DEP_2)
	v_mov_b32_e32 v53, v55
	v_mad_co_u64_u32 v[56:57], null, s5, v247, v[54:55]
	v_lshlrev_b64_e32 v[62:63], 4, v[52:53]
	s_delay_alu instid0(VALU_DEP_2)
	v_mov_b32_e32 v61, v56
	ds_load_b128 v[52:55], v246
	ds_load_b128 v[56:59], v246 offset:448
	v_add_co_u32 v148, vcc_lo, s8, v62
	v_add_co_ci_u32_e32 v149, vcc_lo, s9, v63, vcc_lo
	v_lshlrev_b64_e32 v[68:69], 4, v[60:61]
	ds_load_b128 v[60:63], v246 offset:896
	ds_load_b128 v[64:67], v246 offset:1344
	v_add_co_u32 v104, vcc_lo, v148, v68
	s_wait_alu 0xfffd
	v_add_co_ci_u32_e32 v105, vcc_lo, v149, v69, vcc_lo
	ds_load_b128 v[68:71], v246 offset:1792
	ds_load_b128 v[72:75], v246 offset:2240
	;; [unrolled: 1-line block ×9, first 2 shown]
	s_wait_alu 0xfffe
	v_add_co_u32 v106, vcc_lo, v104, s0
	s_wait_alu 0xfffd
	v_add_co_ci_u32_e32 v107, vcc_lo, s1, v105, vcc_lo
	s_delay_alu instid0(VALU_DEP_2) | instskip(SKIP_1) | instid1(VALU_DEP_2)
	v_add_co_u32 v108, vcc_lo, v106, s0
	s_wait_alu 0xfffd
	v_add_co_ci_u32_e32 v109, vcc_lo, s1, v107, vcc_lo
	s_delay_alu instid0(VALU_DEP_2) | instskip(SKIP_1) | instid1(VALU_DEP_2)
	;; [unrolled: 4-line block ×6, first 2 shown]
	v_add_co_u32 v144, vcc_lo, v142, s0
	s_wait_alu 0xfffd
	v_add_co_ci_u32_e32 v145, vcc_lo, s1, v143, vcc_lo
	s_delay_alu instid0(VALU_DEP_1)
	v_mad_co_u64_u32 v[146:147], null, 0x380, s4, v[144:145]
	s_wait_loadcnt_dscnt 0xc0c
	v_mul_f64_e32 v[116:117], v[54:55], v[2:3]
	v_mul_f64_e32 v[2:3], v[52:53], v[2:3]
	s_wait_loadcnt_dscnt 0xb0b
	v_mul_f64_e32 v[118:119], v[58:59], v[6:7]
	v_mul_f64_e32 v[6:7], v[56:57], v[6:7]
	;; [unrolled: 3-line block ×13, first 2 shown]
	v_fma_f64 v[52:53], v[52:53], v[0:1], v[116:117]
	v_fma_f64 v[2:3], v[0:1], v[54:55], -v[2:3]
	v_mov_b32_e32 v0, v147
	v_fma_f64 v[54:55], v[56:57], v[4:5], v[118:119]
	v_fma_f64 v[6:7], v[4:5], v[58:59], -v[6:7]
	v_fma_f64 v[56:57], v[60:61], v[8:9], v[120:121]
	v_fma_f64 v[10:11], v[8:9], v[62:63], -v[10:11]
	;; [unrolled: 2-line block ×12, first 2 shown]
	v_mad_co_u64_u32 v[80:81], null, 0x380, s5, v[0:1]
	v_mad_co_u64_u32 v[78:79], null, s4, v245, 0
	s_delay_alu instid0(VALU_DEP_2) | instskip(SKIP_2) | instid1(VALU_DEP_4)
	v_mov_b32_e32 v147, v80
	v_mul_f64_e32 v[0:1], s[2:3], v[52:53]
	v_mul_f64_e32 v[2:3], s[2:3], v[2:3]
	v_mad_co_u64_u32 v[52:53], null, s5, v245, v[79:80]
	v_mul_f64_e32 v[4:5], s[2:3], v[54:55]
	v_mul_f64_e32 v[6:7], s[2:3], v[6:7]
	;; [unrolled: 1-line block ×24, first 2 shown]
	v_mov_b32_e32 v79, v52
	v_add_co_u32 v52, vcc_lo, v146, s0
	s_wait_alu 0xfffd
	v_add_co_ci_u32_e32 v53, vcc_lo, s1, v147, vcc_lo
	s_delay_alu instid0(VALU_DEP_3) | instskip(NEXT) | instid1(VALU_DEP_3)
	v_lshlrev_b64_e32 v[54:55], 4, v[78:79]
	v_add_co_u32 v56, vcc_lo, v52, s0
	s_wait_alu 0xfffd
	s_delay_alu instid0(VALU_DEP_3) | instskip(NEXT) | instid1(VALU_DEP_3)
	v_add_co_ci_u32_e32 v57, vcc_lo, s1, v53, vcc_lo
	v_add_co_u32 v54, vcc_lo, v148, v54
	s_wait_alu 0xfffd
	v_add_co_ci_u32_e32 v55, vcc_lo, v149, v55, vcc_lo
	v_add_co_u32 v58, vcc_lo, v56, s0
	s_wait_alu 0xfffd
	v_add_co_ci_u32_e32 v59, vcc_lo, s1, v57, vcc_lo
	s_clause 0x4
	global_store_b128 v[104:105], v[0:3], off
	global_store_b128 v[106:107], v[4:7], off
	;; [unrolled: 1-line block ×13, first 2 shown]
.LBB0_23:
	s_nop 0
	s_sendmsg sendmsg(MSG_DEALLOC_VGPRS)
	s_endpgm
	.section	.rodata,"a",@progbits
	.p2align	6, 0x0
	.amdhsa_kernel bluestein_single_back_len364_dim1_dp_op_CI_CI
		.amdhsa_group_segment_fixed_size 5824
		.amdhsa_private_segment_fixed_size 20
		.amdhsa_kernarg_size 104
		.amdhsa_user_sgpr_count 2
		.amdhsa_user_sgpr_dispatch_ptr 0
		.amdhsa_user_sgpr_queue_ptr 0
		.amdhsa_user_sgpr_kernarg_segment_ptr 1
		.amdhsa_user_sgpr_dispatch_id 0
		.amdhsa_user_sgpr_private_segment_size 0
		.amdhsa_wavefront_size32 1
		.amdhsa_uses_dynamic_stack 0
		.amdhsa_enable_private_segment 1
		.amdhsa_system_sgpr_workgroup_id_x 1
		.amdhsa_system_sgpr_workgroup_id_y 0
		.amdhsa_system_sgpr_workgroup_id_z 0
		.amdhsa_system_sgpr_workgroup_info 0
		.amdhsa_system_vgpr_workitem_id 0
		.amdhsa_next_free_vgpr 256
		.amdhsa_next_free_sgpr 42
		.amdhsa_reserve_vcc 1
		.amdhsa_float_round_mode_32 0
		.amdhsa_float_round_mode_16_64 0
		.amdhsa_float_denorm_mode_32 3
		.amdhsa_float_denorm_mode_16_64 3
		.amdhsa_fp16_overflow 0
		.amdhsa_workgroup_processor_mode 1
		.amdhsa_memory_ordered 1
		.amdhsa_forward_progress 0
		.amdhsa_round_robin_scheduling 0
		.amdhsa_exception_fp_ieee_invalid_op 0
		.amdhsa_exception_fp_denorm_src 0
		.amdhsa_exception_fp_ieee_div_zero 0
		.amdhsa_exception_fp_ieee_overflow 0
		.amdhsa_exception_fp_ieee_underflow 0
		.amdhsa_exception_fp_ieee_inexact 0
		.amdhsa_exception_int_div_zero 0
	.end_amdhsa_kernel
	.text
.Lfunc_end0:
	.size	bluestein_single_back_len364_dim1_dp_op_CI_CI, .Lfunc_end0-bluestein_single_back_len364_dim1_dp_op_CI_CI
                                        ; -- End function
	.section	.AMDGPU.csdata,"",@progbits
; Kernel info:
; codeLenInByte = 13468
; NumSgprs: 44
; NumVgprs: 256
; ScratchSize: 20
; MemoryBound: 0
; FloatMode: 240
; IeeeMode: 1
; LDSByteSize: 5824 bytes/workgroup (compile time only)
; SGPRBlocks: 5
; VGPRBlocks: 31
; NumSGPRsForWavesPerEU: 44
; NumVGPRsForWavesPerEU: 256
; Occupancy: 5
; WaveLimiterHint : 1
; COMPUTE_PGM_RSRC2:SCRATCH_EN: 1
; COMPUTE_PGM_RSRC2:USER_SGPR: 2
; COMPUTE_PGM_RSRC2:TRAP_HANDLER: 0
; COMPUTE_PGM_RSRC2:TGID_X_EN: 1
; COMPUTE_PGM_RSRC2:TGID_Y_EN: 0
; COMPUTE_PGM_RSRC2:TGID_Z_EN: 0
; COMPUTE_PGM_RSRC2:TIDIG_COMP_CNT: 0
	.text
	.p2alignl 7, 3214868480
	.fill 96, 4, 3214868480
	.type	__hip_cuid_d88d5c2ca57a5f24,@object ; @__hip_cuid_d88d5c2ca57a5f24
	.section	.bss,"aw",@nobits
	.globl	__hip_cuid_d88d5c2ca57a5f24
__hip_cuid_d88d5c2ca57a5f24:
	.byte	0                               ; 0x0
	.size	__hip_cuid_d88d5c2ca57a5f24, 1

	.ident	"AMD clang version 19.0.0git (https://github.com/RadeonOpenCompute/llvm-project roc-6.4.0 25133 c7fe45cf4b819c5991fe208aaa96edf142730f1d)"
	.section	".note.GNU-stack","",@progbits
	.addrsig
	.addrsig_sym __hip_cuid_d88d5c2ca57a5f24
	.amdgpu_metadata
---
amdhsa.kernels:
  - .args:
      - .actual_access:  read_only
        .address_space:  global
        .offset:         0
        .size:           8
        .value_kind:     global_buffer
      - .actual_access:  read_only
        .address_space:  global
        .offset:         8
        .size:           8
        .value_kind:     global_buffer
      - .actual_access:  read_only
        .address_space:  global
        .offset:         16
        .size:           8
        .value_kind:     global_buffer
      - .actual_access:  read_only
        .address_space:  global
        .offset:         24
        .size:           8
        .value_kind:     global_buffer
      - .actual_access:  read_only
        .address_space:  global
        .offset:         32
        .size:           8
        .value_kind:     global_buffer
      - .offset:         40
        .size:           8
        .value_kind:     by_value
      - .address_space:  global
        .offset:         48
        .size:           8
        .value_kind:     global_buffer
      - .address_space:  global
        .offset:         56
        .size:           8
        .value_kind:     global_buffer
      - .address_space:  global
        .offset:         64
        .size:           8
        .value_kind:     global_buffer
      - .address_space:  global
        .offset:         72
        .size:           8
        .value_kind:     global_buffer
      - .offset:         80
        .size:           4
        .value_kind:     by_value
      - .address_space:  global
        .offset:         88
        .size:           8
        .value_kind:     global_buffer
      - .address_space:  global
        .offset:         96
        .size:           8
        .value_kind:     global_buffer
    .group_segment_fixed_size: 5824
    .kernarg_segment_align: 8
    .kernarg_segment_size: 104
    .language:       OpenCL C
    .language_version:
      - 2
      - 0
    .max_flat_workgroup_size: 52
    .name:           bluestein_single_back_len364_dim1_dp_op_CI_CI
    .private_segment_fixed_size: 20
    .sgpr_count:     44
    .sgpr_spill_count: 0
    .symbol:         bluestein_single_back_len364_dim1_dp_op_CI_CI.kd
    .uniform_work_group_size: 1
    .uses_dynamic_stack: false
    .vgpr_count:     256
    .vgpr_spill_count: 4
    .wavefront_size: 32
    .workgroup_processor_mode: 1
amdhsa.target:   amdgcn-amd-amdhsa--gfx1201
amdhsa.version:
  - 1
  - 2
...

	.end_amdgpu_metadata
